;; amdgpu-corpus repo=ROCm/rocFFT kind=compiled arch=gfx950 opt=O3
	.text
	.amdgcn_target "amdgcn-amd-amdhsa--gfx950"
	.amdhsa_code_object_version 6
	.protected	fft_rtc_fwd_len1156_factors_17_2_17_2_wgs_204_tpt_68_halfLds_half_op_CI_CI_unitstride_sbrr_R2C_dirReg ; -- Begin function fft_rtc_fwd_len1156_factors_17_2_17_2_wgs_204_tpt_68_halfLds_half_op_CI_CI_unitstride_sbrr_R2C_dirReg
	.globl	fft_rtc_fwd_len1156_factors_17_2_17_2_wgs_204_tpt_68_halfLds_half_op_CI_CI_unitstride_sbrr_R2C_dirReg
	.p2align	8
	.type	fft_rtc_fwd_len1156_factors_17_2_17_2_wgs_204_tpt_68_halfLds_half_op_CI_CI_unitstride_sbrr_R2C_dirReg,@function
fft_rtc_fwd_len1156_factors_17_2_17_2_wgs_204_tpt_68_halfLds_half_op_CI_CI_unitstride_sbrr_R2C_dirReg: ; @fft_rtc_fwd_len1156_factors_17_2_17_2_wgs_204_tpt_68_halfLds_half_op_CI_CI_unitstride_sbrr_R2C_dirReg
; %bb.0:
	s_load_dwordx4 s[4:7], s[0:1], 0x58
	s_load_dwordx4 s[8:11], s[0:1], 0x0
	;; [unrolled: 1-line block ×3, first 2 shown]
	v_mul_u32_u24_e32 v1, 0x3c4, v0
	v_lshrrev_b32_e32 v2, 16, v1
	v_mad_u64_u32 v[6:7], s[2:3], s2, 3, v[2:3]
	v_mov_b32_e32 v8, 0
	v_mov_b32_e32 v7, v8
	s_waitcnt lgkmcnt(0)
	v_cmp_lt_u64_e64 s[2:3], s[10:11], 2
	v_mov_b64_e32 v[24:25], 0
	s_and_b64 vcc, exec, s[2:3]
	v_mov_b64_e32 v[2:3], v[24:25]
	v_mov_b64_e32 v[4:5], v[6:7]
	s_cbranch_vccnz .LBB0_8
; %bb.1:
	s_load_dwordx2 s[2:3], s[0:1], 0x10
	s_add_u32 s16, s14, 8
	s_addc_u32 s17, s15, 0
	s_add_u32 s18, s12, 8
	s_addc_u32 s19, s13, 0
	s_waitcnt lgkmcnt(0)
	s_add_u32 s20, s2, 8
	v_mov_b64_e32 v[24:25], 0
	s_addc_u32 s21, s3, 0
	s_mov_b64 s[22:23], 1
	v_mov_b64_e32 v[2:3], v[24:25]
	v_mov_b64_e32 v[10:11], v[6:7]
.LBB0_2:                                ; =>This Inner Loop Header: Depth=1
	s_load_dwordx2 s[24:25], s[20:21], 0x0
                                        ; implicit-def: $vgpr4_vgpr5
	s_waitcnt lgkmcnt(0)
	v_or_b32_e32 v9, s25, v11
	v_cmp_ne_u64_e32 vcc, 0, v[8:9]
	s_and_saveexec_b64 s[2:3], vcc
	s_xor_b64 s[26:27], exec, s[2:3]
	s_cbranch_execz .LBB0_4
; %bb.3:                                ;   in Loop: Header=BB0_2 Depth=1
	v_cvt_f32_u32_e32 v1, s24
	v_cvt_f32_u32_e32 v4, s25
	s_sub_u32 s2, 0, s24
	s_subb_u32 s3, 0, s25
	v_fmac_f32_e32 v1, 0x4f800000, v4
	v_rcp_f32_e32 v1, v1
	s_nop 0
	v_mul_f32_e32 v1, 0x5f7ffffc, v1
	v_mul_f32_e32 v4, 0x2f800000, v1
	v_trunc_f32_e32 v4, v4
	v_fmac_f32_e32 v1, 0xcf800000, v4
	v_cvt_u32_f32_e32 v7, v4
	v_cvt_u32_f32_e32 v1, v1
	v_mul_lo_u32 v4, s2, v7
	v_mul_hi_u32 v9, s2, v1
	v_mul_lo_u32 v5, s3, v1
	v_add_u32_e32 v9, v9, v4
	v_mul_lo_u32 v14, s2, v1
	v_add_u32_e32 v9, v9, v5
	v_mul_hi_u32 v4, v1, v14
	v_mul_hi_u32 v13, v1, v9
	v_mul_lo_u32 v12, v1, v9
	v_mov_b32_e32 v5, v8
	v_lshl_add_u64 v[4:5], v[4:5], 0, v[12:13]
	v_mul_hi_u32 v13, v7, v14
	v_mul_lo_u32 v14, v7, v14
	v_add_co_u32_e32 v4, vcc, v4, v14
	v_mul_hi_u32 v12, v7, v9
	s_nop 0
	v_addc_co_u32_e32 v4, vcc, v5, v13, vcc
	v_mov_b32_e32 v5, v8
	s_nop 0
	v_addc_co_u32_e32 v13, vcc, 0, v12, vcc
	v_mul_lo_u32 v12, v7, v9
	v_lshl_add_u64 v[4:5], v[4:5], 0, v[12:13]
	v_add_co_u32_e32 v1, vcc, v1, v4
	v_mul_lo_u32 v12, s2, v1
	s_nop 0
	v_addc_co_u32_e32 v7, vcc, v7, v5, vcc
	v_mul_lo_u32 v4, s2, v7
	v_mul_hi_u32 v5, s2, v1
	v_add_u32_e32 v4, v5, v4
	v_mul_lo_u32 v5, s3, v1
	v_add_u32_e32 v9, v4, v5
	v_mul_hi_u32 v15, v7, v12
	v_mul_lo_u32 v16, v7, v12
	v_mul_hi_u32 v5, v1, v9
	v_mul_lo_u32 v4, v1, v9
	v_mul_hi_u32 v12, v1, v12
	v_mov_b32_e32 v13, v8
	v_lshl_add_u64 v[4:5], v[12:13], 0, v[4:5]
	v_add_co_u32_e32 v4, vcc, v4, v16
	v_mul_hi_u32 v14, v7, v9
	s_nop 0
	v_addc_co_u32_e32 v4, vcc, v5, v15, vcc
	v_mul_lo_u32 v12, v7, v9
	s_nop 0
	v_addc_co_u32_e32 v13, vcc, 0, v14, vcc
	v_mov_b32_e32 v5, v8
	v_lshl_add_u64 v[4:5], v[4:5], 0, v[12:13]
	v_add_co_u32_e32 v1, vcc, v1, v4
	v_mul_hi_u32 v12, v10, v1
	s_nop 0
	v_addc_co_u32_e32 v7, vcc, v7, v5, vcc
	v_mad_u64_u32 v[4:5], s[2:3], v10, v7, 0
	v_mov_b32_e32 v13, v8
	v_lshl_add_u64 v[4:5], v[12:13], 0, v[4:5]
	v_mad_u64_u32 v[14:15], s[2:3], v11, v1, 0
	v_add_co_u32_e32 v1, vcc, v4, v14
	v_mad_u64_u32 v[12:13], s[2:3], v11, v7, 0
	s_nop 0
	v_addc_co_u32_e32 v4, vcc, v5, v15, vcc
	v_mov_b32_e32 v5, v8
	s_nop 0
	v_addc_co_u32_e32 v13, vcc, 0, v13, vcc
	v_lshl_add_u64 v[4:5], v[4:5], 0, v[12:13]
	v_mul_lo_u32 v1, s25, v4
	v_mul_lo_u32 v7, s24, v5
	v_mad_u64_u32 v[12:13], s[2:3], s24, v4, 0
	v_add3_u32 v1, v13, v7, v1
	v_sub_u32_e32 v7, v11, v1
	v_mov_b32_e32 v9, s25
	v_sub_co_u32_e32 v16, vcc, v10, v12
	v_lshl_add_u64 v[14:15], v[4:5], 0, 1
	s_nop 0
	v_subb_co_u32_e64 v7, s[2:3], v7, v9, vcc
	v_subrev_co_u32_e64 v9, s[2:3], s24, v16
	v_subb_co_u32_e32 v1, vcc, v11, v1, vcc
	s_nop 0
	v_subbrev_co_u32_e64 v7, s[2:3], 0, v7, s[2:3]
	v_cmp_le_u32_e64 s[2:3], s25, v7
	v_cmp_le_u32_e32 vcc, s25, v1
	s_nop 0
	v_cndmask_b32_e64 v12, 0, -1, s[2:3]
	v_cmp_le_u32_e64 s[2:3], s24, v9
	s_nop 1
	v_cndmask_b32_e64 v9, 0, -1, s[2:3]
	v_cmp_eq_u32_e64 s[2:3], s25, v7
	s_nop 1
	v_cndmask_b32_e64 v7, v12, v9, s[2:3]
	v_lshl_add_u64 v[12:13], v[4:5], 0, 2
	v_cmp_ne_u32_e64 s[2:3], 0, v7
	v_cndmask_b32_e64 v9, 0, -1, vcc
	v_cmp_le_u32_e32 vcc, s24, v16
	v_cndmask_b32_e64 v7, v15, v13, s[2:3]
	s_nop 0
	v_cndmask_b32_e64 v13, 0, -1, vcc
	v_cmp_eq_u32_e32 vcc, s25, v1
	s_nop 1
	v_cndmask_b32_e32 v1, v9, v13, vcc
	v_cmp_ne_u32_e32 vcc, 0, v1
	v_cndmask_b32_e64 v1, v14, v12, s[2:3]
	s_nop 0
	v_cndmask_b32_e32 v5, v5, v7, vcc
	v_cndmask_b32_e32 v4, v4, v1, vcc
.LBB0_4:                                ;   in Loop: Header=BB0_2 Depth=1
	s_andn2_saveexec_b64 s[2:3], s[26:27]
	s_cbranch_execz .LBB0_6
; %bb.5:                                ;   in Loop: Header=BB0_2 Depth=1
	v_cvt_f32_u32_e32 v1, s24
	s_sub_i32 s26, 0, s24
	v_rcp_iflag_f32_e32 v1, v1
	s_nop 0
	v_mul_f32_e32 v1, 0x4f7ffffe, v1
	v_cvt_u32_f32_e32 v1, v1
	v_mul_lo_u32 v4, s26, v1
	v_mul_hi_u32 v4, v1, v4
	v_add_u32_e32 v1, v1, v4
	v_mul_hi_u32 v1, v10, v1
	v_mul_lo_u32 v4, v1, s24
	v_sub_u32_e32 v4, v10, v4
	v_add_u32_e32 v5, 1, v1
	v_subrev_u32_e32 v7, s24, v4
	v_cmp_le_u32_e32 vcc, s24, v4
	s_nop 1
	v_cndmask_b32_e32 v4, v4, v7, vcc
	v_cndmask_b32_e32 v1, v1, v5, vcc
	v_add_u32_e32 v5, 1, v1
	v_cmp_le_u32_e32 vcc, s24, v4
	s_nop 1
	v_cndmask_b32_e32 v4, v1, v5, vcc
	v_mov_b32_e32 v5, v8
.LBB0_6:                                ;   in Loop: Header=BB0_2 Depth=1
	s_or_b64 exec, exec, s[2:3]
	v_mad_u64_u32 v[12:13], s[2:3], v4, s24, 0
	s_load_dwordx2 s[2:3], s[18:19], 0x0
	s_add_u32 s22, s22, 1
	v_mul_lo_u32 v1, v5, s24
	v_mul_lo_u32 v7, v4, s25
	s_load_dwordx2 s[24:25], s[16:17], 0x0
	s_addc_u32 s23, s23, 0
	v_add3_u32 v1, v13, v7, v1
	v_sub_co_u32_e32 v7, vcc, v10, v12
	s_add_u32 s16, s16, 8
	s_nop 0
	v_subb_co_u32_e32 v1, vcc, v11, v1, vcc
	s_addc_u32 s17, s17, 0
	s_waitcnt lgkmcnt(0)
	v_mul_lo_u32 v9, s2, v1
	v_mul_lo_u32 v10, s3, v7
	v_mad_u64_u32 v[24:25], s[2:3], s2, v7, v[24:25]
	s_add_u32 s18, s18, 8
	v_add3_u32 v25, v10, v25, v9
	s_addc_u32 s19, s19, 0
	v_mov_b64_e32 v[10:11], s[10:11]
	v_mul_lo_u32 v1, s24, v1
	v_mul_lo_u32 v9, s25, v7
	v_mad_u64_u32 v[2:3], s[2:3], s24, v7, v[2:3]
	s_add_u32 s20, s20, 8
	v_cmp_ge_u64_e32 vcc, s[22:23], v[10:11]
	v_add3_u32 v3, v9, v3, v1
	s_addc_u32 s21, s21, 0
	s_cbranch_vccnz .LBB0_8
; %bb.7:                                ;   in Loop: Header=BB0_2 Depth=1
	v_mov_b64_e32 v[10:11], v[4:5]
	s_branch .LBB0_2
.LBB0_8:
	s_load_dwordx2 s[18:19], s[0:1], 0x28
	s_mov_b32 s0, 0xaaaaaaab
	v_mul_hi_u32 v1, v6, s0
	s_lshl_b64 s[16:17], s[10:11], 3
	v_lshrrev_b32_e32 v1, 1, v1
	s_add_u32 s2, s14, s16
	v_lshl_add_u32 v1, v1, 1, v1
	s_addc_u32 s3, s15, s17
	v_sub_u32_e32 v1, v6, v1
	s_waitcnt lgkmcnt(0)
	v_cmp_gt_u64_e64 s[0:1], s[18:19], v[4:5]
	v_cmp_le_u64_e32 vcc, s[18:19], v[4:5]
                                        ; implicit-def: $vgpr10_vgpr11
                                        ; implicit-def: $vgpr12_vgpr13
                                        ; implicit-def: $vgpr6
                                        ; implicit-def: $vgpr22
                                        ; implicit-def: $vgpr20
                                        ; implicit-def: $vgpr18
                                        ; implicit-def: $vgpr8
                                        ; implicit-def: $vgpr16
                                        ; implicit-def: $vgpr14
	s_and_saveexec_b64 s[10:11], vcc
	s_xor_b64 s[10:11], exec, s[10:11]
	s_cbranch_execz .LBB0_10
; %bb.9:
	s_mov_b32 s14, 0x3c3c3c4
	v_mul_hi_u32 v6, v0, s14
	v_mul_u32_u24_e32 v6, 0x44, v6
	v_sub_u32_e32 v6, v0, v6
	v_add_u32_e32 v13, 0x154, v6
	v_add_u32_e32 v11, 0x1dc, v6
	;; [unrolled: 1-line block ×8, first 2 shown]
	v_mov_b32_e32 v16, v13
	v_mov_b32_e32 v14, v11
                                        ; implicit-def: $vgpr0
                                        ; implicit-def: $vgpr24_vgpr25
.LBB0_10:
	s_or_saveexec_b64 s[10:11], s[10:11]
	v_mul_u32_u24_e32 v1, 0x485, v1
	s_xor_b64 exec, exec, s[10:11]
	s_cbranch_execz .LBB0_12
; %bb.11:
	s_add_u32 s12, s12, s16
	s_addc_u32 s13, s13, s17
	s_load_dwordx2 s[12:13], s[12:13], 0x0
	s_mov_b32 s14, 0x3c3c3c4
	v_mov_b32_e32 v15, 0
	s_waitcnt lgkmcnt(0)
	v_mul_lo_u32 v6, s13, v4
	v_mul_lo_u32 v7, s12, v5
	v_mad_u64_u32 v[8:9], s[12:13], s12, v4, 0
	v_add3_u32 v9, v9, v7, v6
	v_mul_hi_u32 v6, v0, s14
	v_mul_u32_u24_e32 v6, 0x44, v6
	v_sub_u32_e32 v6, v0, v6
	v_lshl_add_u64 v[8:9], v[8:9], 2, s[4:5]
	v_lshl_add_u64 v[8:9], v[24:25], 2, v[8:9]
	v_lshlrev_b32_e32 v14, 2, v6
	v_lshl_add_u32 v0, v1, 2, 0
	v_add_u32_e32 v12, 0x110, v6
	v_lshl_add_u64 v[16:17], v[8:9], 0, v[14:15]
	v_add_u32_e32 v7, v0, v14
	v_add_u32_e32 v13, 0x154, v6
	v_mov_b32_e32 v14, v12
	v_lshl_add_u64 v[18:19], v[14:15], 2, v[8:9]
	v_mov_b32_e32 v14, v13
	v_add_u32_e32 v10, 0x198, v6
	v_lshl_add_u64 v[20:21], v[14:15], 2, v[8:9]
	v_add_u32_e32 v11, 0x1dc, v6
	v_mov_b32_e32 v14, v10
	v_lshl_add_u64 v[22:23], v[14:15], 2, v[8:9]
	v_mov_b32_e32 v14, v11
	v_lshl_add_u64 v[8:9], v[14:15], 2, v[8:9]
	global_load_dword v15, v[18:19], off
	global_load_dword v24, v[20:21], off
	;; [unrolled: 1-line block ×4, first 2 shown]
	v_add_co_u32_e32 v8, vcc, 0x1000, v16
	v_add_u32_e32 v22, 0x44, v6
	s_nop 0
	v_addc_co_u32_e32 v9, vcc, 0, v17, vcc
	global_load_dword v19, v[16:17], off
	global_load_dword v21, v[16:17], off offset:272
	global_load_dword v23, v[16:17], off offset:544
	;; [unrolled: 1-line block ×12, first 2 shown]
	v_lshl_add_u32 v16, v13, 2, v0
	v_add_u32_e32 v20, 0x88, v6
	v_add_u32_e32 v18, 0xcc, v6
	;; [unrolled: 1-line block ×3, first 2 shown]
	v_lshl_add_u32 v9, v12, 2, v0
	v_lshl_add_u32 v17, v10, 2, v0
	;; [unrolled: 1-line block ×3, first 2 shown]
	v_add_u32_e32 v37, 0x800, v7
	v_add_u32_e32 v38, 0xc00, v7
	s_waitcnt vmcnt(11)
	ds_write2_b32 v7, v19, v21 offset1:68
	s_waitcnt vmcnt(9)
	ds_write2_b32 v7, v23, v27 offset0:136 offset1:204
	ds_write_b32 v9, v15
	ds_write_b32 v16, v24
	s_waitcnt vmcnt(8)
	ds_write_b32 v7, v28 offset:4352
	ds_write_b32 v17, v25
	ds_write_b32 v0, v26
	s_waitcnt vmcnt(6)
	ds_write2_b32 v37, v29, v30 offset0:32 offset1:100
	s_waitcnt vmcnt(4)
	ds_write2_b32 v37, v31, v32 offset0:168 offset1:236
	;; [unrolled: 2-line block ×4, first 2 shown]
	v_mov_b32_e32 v16, v13
.LBB0_12:
	s_or_b64 exec, exec, s[10:11]
	v_lshlrev_b32_e32 v7, 2, v1
	v_add_u32_e32 v36, 0, v7
	v_lshlrev_b32_e32 v37, 2, v6
	v_add_u32_e32 v9, v36, v37
	v_add3_u32 v38, 0, v37, v7
	s_load_dwordx2 s[4:5], s[2:3], 0x0
	s_waitcnt lgkmcnt(0)
	s_barrier
	ds_read_b32 v23, v9
	ds_read2_b32 v[0:1], v38 offset0:68 offset1:136
	v_add_u32_e32 v15, 0x200, v38
	ds_read2_b32 v[24:25], v15 offset0:76 offset1:144
	v_add_u32_e32 v15, 0x400, v38
	;; [unrolled: 2-line block ×3, first 2 shown]
	s_waitcnt lgkmcnt(2)
	v_add_f16_e32 v39, v23, v0
	v_add_f16_sdwa v40, v23, v0 dst_sel:DWORD dst_unused:UNUSED_PAD src0_sel:WORD_1 src1_sel:WORD_1
	ds_read2_b32 v[26:27], v15 offset0:92 offset1:160
	v_add_f16_e32 v39, v39, v1
	v_add_f16_sdwa v40, v40, v1 dst_sel:DWORD dst_unused:UNUSED_PAD src0_sel:DWORD src1_sel:WORD_1
	v_add_u32_e32 v21, 0x800, v38
	s_waitcnt lgkmcnt(2)
	v_add_f16_e32 v39, v39, v24
	v_add_f16_sdwa v40, v40, v24 dst_sel:DWORD dst_unused:UNUSED_PAD src0_sel:DWORD src1_sel:WORD_1
	ds_read2_b32 v[28:29], v21 offset0:100 offset1:168
	v_add_f16_e32 v39, v39, v25
	v_add_f16_sdwa v40, v40, v25 dst_sel:DWORD dst_unused:UNUSED_PAD src0_sel:DWORD src1_sel:WORD_1
	v_add_u32_e32 v19, 0xa00, v38
	s_waitcnt lgkmcnt(2)
	v_add_f16_e32 v39, v39, v32
	v_add_f16_sdwa v40, v40, v32 dst_sel:DWORD dst_unused:UNUSED_PAD src0_sel:DWORD src1_sel:WORD_1
	ds_read2_b32 v[34:35], v19 offset0:108 offset1:176
	v_add_f16_e32 v39, v39, v33
	v_add_f16_sdwa v40, v40, v33 dst_sel:DWORD dst_unused:UNUSED_PAD src0_sel:DWORD src1_sel:WORD_1
	v_add_u32_e32 v17, 0xc00, v38
	s_waitcnt lgkmcnt(2)
	v_add_f16_e32 v39, v39, v26
	v_add_f16_sdwa v40, v40, v26 dst_sel:DWORD dst_unused:UNUSED_PAD src0_sel:DWORD src1_sel:WORD_1
	ds_read2_b32 v[30:31], v17 offset0:116 offset1:184
	v_add_u32_e32 v15, 0xe00, v38
	v_add_f16_e32 v39, v39, v27
	v_add_f16_sdwa v40, v40, v27 dst_sel:DWORD dst_unused:UNUSED_PAD src0_sel:DWORD src1_sel:WORD_1
	s_waitcnt lgkmcnt(2)
	v_add_f16_e32 v39, v39, v28
	v_add_f16_sdwa v40, v40, v28 dst_sel:DWORD dst_unused:UNUSED_PAD src0_sel:DWORD src1_sel:WORD_1
	ds_read2_b32 v[54:55], v15 offset0:124 offset1:192
	v_add_f16_e32 v39, v39, v29
	v_add_f16_sdwa v40, v40, v29 dst_sel:DWORD dst_unused:UNUSED_PAD src0_sel:DWORD src1_sel:WORD_1
	s_waitcnt lgkmcnt(2)
	v_add_f16_e32 v39, v39, v34
	v_add_f16_sdwa v40, v40, v34 dst_sel:DWORD dst_unused:UNUSED_PAD src0_sel:DWORD src1_sel:WORD_1
	v_add_f16_e32 v52, v39, v35
	v_add_f16_sdwa v53, v40, v35 dst_sel:DWORD dst_unused:UNUSED_PAD src0_sel:DWORD src1_sel:WORD_1
	s_waitcnt lgkmcnt(1)
	v_add_f16_e32 v40, v31, v24
	v_add_f16_sdwa v39, v31, v24 dst_sel:DWORD dst_unused:UNUSED_PAD src0_sel:WORD_1 src1_sel:WORD_1
	v_sub_f16_e32 v41, v24, v31
	v_sub_f16_sdwa v44, v24, v31 dst_sel:DWORD dst_unused:UNUSED_PAD src0_sel:WORD_1 src1_sel:WORD_1
	v_add_f16_e32 v24, v30, v25
	v_add_f16_e32 v43, v35, v32
	v_add_f16_sdwa v42, v35, v32 dst_sel:DWORD dst_unused:UNUSED_PAD src0_sel:WORD_1 src1_sel:WORD_1
	v_sub_f16_e32 v45, v32, v35
	v_sub_f16_sdwa v46, v32, v35 dst_sel:DWORD dst_unused:UNUSED_PAD src0_sel:WORD_1 src1_sel:WORD_1
	v_add_f16_e32 v35, v34, v33
	v_add_f16_sdwa v32, v34, v33 dst_sel:DWORD dst_unused:UNUSED_PAD src0_sel:WORD_1 src1_sel:WORD_1
	v_sub_f16_e32 v47, v33, v34
	v_sub_f16_sdwa v48, v33, v34 dst_sel:DWORD dst_unused:UNUSED_PAD src0_sel:WORD_1 src1_sel:WORD_1
	;; [unrolled: 4-line block ×4, first 2 shown]
	v_add_f16_sdwa v28, v30, v25 dst_sel:DWORD dst_unused:UNUSED_PAD src0_sel:WORD_1 src1_sel:WORD_1
	v_sub_f16_e32 v56, v25, v30
	v_sub_f16_sdwa v25, v25, v30 dst_sel:DWORD dst_unused:UNUSED_PAD src0_sel:WORD_1 src1_sel:WORD_1
	v_add_f16_e32 v52, v52, v30
	v_add_f16_sdwa v30, v53, v30 dst_sel:DWORD dst_unused:UNUSED_PAD src0_sel:DWORD src1_sel:WORD_1
	v_add_f16_e32 v52, v52, v31
	v_add_f16_sdwa v30, v30, v31 dst_sel:DWORD dst_unused:UNUSED_PAD src0_sel:DWORD src1_sel:WORD_1
	s_waitcnt lgkmcnt(0)
	v_sub_f16_sdwa v58, v0, v55 dst_sel:DWORD dst_unused:UNUSED_PAD src0_sel:WORD_1 src1_sel:WORD_1
	v_add_f16_e32 v31, v55, v0
	v_add_f16_sdwa v53, v55, v0 dst_sel:DWORD dst_unused:UNUSED_PAD src0_sel:WORD_1 src1_sel:WORD_1
	v_sub_f16_e32 v57, v0, v55
	v_add_f16_e32 v59, v54, v1
	v_add_f16_sdwa v60, v54, v1 dst_sel:DWORD dst_unused:UNUSED_PAD src0_sel:WORD_1 src1_sel:WORD_1
	v_sub_f16_e32 v61, v1, v54
	v_sub_f16_sdwa v62, v1, v54 dst_sel:DWORD dst_unused:UNUSED_PAD src0_sel:WORD_1 src1_sel:WORD_1
	v_add_f16_e32 v0, v52, v54
	v_add_f16_sdwa v1, v30, v54 dst_sel:DWORD dst_unused:UNUSED_PAD src0_sel:DWORD src1_sel:WORD_1
	s_movk_i32 s13, 0x3b76
	v_mul_f16_e32 v30, 0xb5c8, v58
	s_movk_i32 s11, 0x39e9
	v_mul_f16_e32 v54, 0xb964, v58
	;; [unrolled: 2-line block ×4, first 2 shown]
	s_mov_b32 s3, 0xb461
	v_mul_f16_e32 v67, 0xbbb2, v58
	s_mov_b32 s12, 0xb8d2
	v_mul_f16_e32 v69, 0xba62, v58
	;; [unrolled: 2-line block ×3, first 2 shown]
	v_mul_f16_e32 v58, 0xb1e1, v58
	s_mov_b32 s15, 0xbbdd
	v_add_f16_e32 v0, v0, v55
	v_add_f16_sdwa v1, v1, v55 dst_sel:DWORD dst_unused:UNUSED_PAD src0_sel:DWORD src1_sel:WORD_1
	v_fma_f16 v52, v31, s13, -v30
	v_fma_f16 v30, v31, s13, v30
	v_fma_f16 v55, v31, s11, -v54
	v_fma_f16 v54, v31, s11, v54
	;; [unrolled: 2-line block ×8, first 2 shown]
	v_mul_f16_e32 v58, 0xb5c8, v57
	v_mul_f16_e32 v75, 0xb964, v57
	;; [unrolled: 1-line block ×8, first 2 shown]
	v_fma_f16 v74, v53, s13, v58
	v_fma_f16 v58, v53, s13, -v58
	v_fma_f16 v76, v53, s11, v75
	v_fma_f16 v75, v53, s11, -v75
	;; [unrolled: 2-line block ×8, first 2 shown]
	v_add_f16_e32 v52, v23, v52
	v_add_f16_sdwa v57, v23, v74 dst_sel:DWORD dst_unused:UNUSED_PAD src0_sel:WORD_1 src1_sel:DWORD
	v_add_f16_e32 v30, v23, v30
	v_add_f16_sdwa v58, v23, v58 dst_sel:DWORD dst_unused:UNUSED_PAD src0_sel:WORD_1 src1_sel:DWORD
	;; [unrolled: 2-line block ×16, first 2 shown]
	v_mul_f16_e32 v53, 0xb964, v62
	v_fma_f16 v87, v59, s11, -v53
	v_add_f16_e32 v52, v87, v52
	v_mul_f16_e32 v87, 0xb964, v61
	v_fma_f16 v53, v59, s11, v53
	v_add_f16_e32 v30, v53, v30
	v_fma_f16 v53, v60, s11, -v87
	v_add_f16_e32 v53, v53, v58
	v_mul_f16_e32 v58, 0xbbf7, v62
	v_fma_f16 v88, v60, s11, v87
	v_fma_f16 v87, v59, s2, -v58
	v_add_f16_e32 v55, v87, v55
	v_mul_f16_e32 v87, 0xbbf7, v61
	v_fma_f16 v58, v59, s2, v58
	v_add_f16_e32 v54, v58, v54
	v_fma_f16 v58, v60, s2, -v87
	v_add_f16_e32 v58, v58, v75
	v_mul_f16_e32 v75, 0xba62, v62
	v_add_f16_e32 v57, v88, v57
	v_fma_f16 v88, v60, s2, v87
	v_fma_f16 v87, v59, s12, -v75
	v_add_f16_e32 v64, v87, v64
	v_mul_f16_e32 v87, 0xba62, v61
	v_fma_f16 v75, v59, s12, v75
	v_add_f16_e32 v63, v75, v63
	v_fma_f16 v75, v60, s12, -v87
	v_add_f16_e32 v75, v75, v77
	v_mul_f16_e32 v77, 0xb1e1, v62
	v_add_f16_e32 v74, v88, v74
	;; [unrolled: 10-line block ×5, first 2 shown]
	v_fma_f16 v88, v60, s3, v87
	v_fma_f16 v87, v59, s10, -v83
	v_add_f16_e32 v72, v87, v72
	v_mul_f16_e32 v87, 0x3b29, v61
	v_fma_f16 v83, v59, s10, v83
	v_add_f16_e32 v71, v83, v71
	v_fma_f16 v83, v60, s10, -v87
	v_mul_f16_e32 v62, 0x35c8, v62
	v_add_f16_e32 v83, v83, v85
	v_fma_f16 v85, v59, s13, -v62
	v_mul_f16_e32 v61, 0x35c8, v61
	v_fma_f16 v59, v59, s13, v62
	v_add_f16_e32 v31, v59, v31
	v_fma_f16 v59, v60, s13, -v61
	v_add_f16_e32 v23, v59, v23
	v_mul_f16_e32 v59, 0xbb29, v44
	v_add_f16_e32 v82, v88, v82
	v_fma_f16 v88, v60, s10, v87
	v_add_f16_e32 v73, v85, v73
	v_fma_f16 v85, v60, s13, v61
	v_fma_f16 v60, v40, s10, -v59
	v_add_f16_e32 v52, v60, v52
	v_mul_f16_e32 v60, 0xbb29, v41
	v_fma_f16 v59, v40, s10, v59
	v_add_f16_e32 v30, v59, v30
	v_fma_f16 v59, v39, s10, -v60
	v_add_f16_e32 v53, v59, v53
	v_mul_f16_e32 v59, 0xba62, v44
	v_fma_f16 v61, v39, s10, v60
	v_fma_f16 v60, v40, s12, -v59
	v_add_f16_e32 v55, v60, v55
	v_mul_f16_e32 v60, 0xba62, v41
	v_fma_f16 v59, v40, s12, v59
	v_add_f16_e32 v54, v59, v54
	v_fma_f16 v59, v39, s12, -v60
	v_add_f16_e32 v58, v59, v58
	v_mul_f16_e32 v59, 0x31e1, v44
	v_add_f16_e32 v57, v61, v57
	v_fma_f16 v61, v39, s12, v60
	v_fma_f16 v60, v40, s15, -v59
	v_fma_f16 v59, v40, s15, v59
	v_add_f16_e32 v59, v59, v63
	v_mul_f16_e32 v63, 0x3bb2, v44
	v_add_f16_e32 v61, v61, v74
	v_mul_f16_e32 v62, 0x31e1, v41
	v_fma_f16 v74, v40, s3, -v63
	v_add_f16_e32 v60, v60, v64
	v_fma_f16 v64, v39, s15, v62
	v_fma_f16 v62, v39, s15, -v62
	v_add_f16_e32 v66, v74, v66
	v_mul_f16_e32 v74, 0x3bb2, v41
	v_fma_f16 v63, v40, s3, v63
	v_add_f16_e32 v62, v62, v75
	v_fma_f16 v75, v39, s3, v74
	v_add_f16_e32 v63, v63, v65
	v_fma_f16 v65, v39, s3, -v74
	v_mul_f16_e32 v74, 0x3964, v44
	v_add_f16_e32 v64, v64, v76
	v_fma_f16 v76, v40, s11, -v74
	v_add_f16_e32 v68, v76, v68
	v_mul_f16_e32 v76, 0x3964, v41
	v_fma_f16 v74, v40, s11, v74
	v_add_f16_e32 v65, v65, v77
	v_fma_f16 v77, v39, s11, v76
	v_add_f16_e32 v67, v74, v67
	v_fma_f16 v74, v39, s11, -v76
	v_mul_f16_e32 v76, 0xb5c8, v44
	v_add_f16_e32 v75, v75, v78
	;; [unrolled: 10-line block ×3, first 2 shown]
	v_fma_f16 v80, v40, s2, -v78
	v_add_f16_e32 v72, v80, v72
	v_mul_f16_e32 v80, 0xbbf7, v41
	v_fma_f16 v78, v40, s2, v78
	v_mul_f16_e32 v44, 0xb836, v44
	v_add_f16_e32 v76, v76, v81
	v_fma_f16 v81, v39, s2, v80
	v_add_f16_e32 v71, v78, v71
	v_fma_f16 v78, v39, s2, -v80
	v_fma_f16 v80, v40, s14, -v44
	v_mul_f16_e32 v41, 0xb836, v41
	v_add_f16_e32 v73, v80, v73
	v_fma_f16 v80, v39, s14, v41
	v_fma_f16 v39, v39, s14, -v41
	v_fma_f16 v40, v40, s14, v44
	v_add_f16_e32 v23, v39, v23
	v_mul_f16_e32 v39, 0xbbf7, v25
	v_add_f16_e32 v31, v40, v31
	v_fma_f16 v40, v24, s2, -v39
	v_mul_f16_e32 v41, 0xbbf7, v56
	v_fma_f16 v39, v24, s2, v39
	v_fma_f16 v44, v28, s2, v41
	v_add_f16_e32 v30, v39, v30
	v_fma_f16 v39, v28, s2, -v41
	v_mul_f16_e32 v41, 0xb1e1, v25
	v_add_f16_e32 v40, v40, v52
	v_add_f16_e32 v39, v39, v53
	v_fma_f16 v52, v24, s15, -v41
	v_mul_f16_e32 v53, 0xb1e1, v56
	v_fma_f16 v41, v24, s15, v41
	v_add_f16_e32 v52, v52, v55
	v_fma_f16 v55, v28, s15, v53
	v_add_f16_e32 v41, v41, v54
	v_fma_f16 v53, v28, s15, -v53
	v_mul_f16_e32 v54, 0x3bb2, v25
	v_add_f16_e32 v44, v44, v57
	v_add_f16_e32 v53, v53, v58
	v_fma_f16 v57, v24, s3, -v54
	v_mul_f16_e32 v58, 0x3bb2, v56
	v_fma_f16 v54, v24, s3, v54
	v_add_f16_e32 v57, v57, v60
	;; [unrolled: 10-line block ×4, first 2 shown]
	v_fma_f16 v68, v28, s10, v66
	v_add_f16_e32 v63, v63, v67
	v_fma_f16 v66, v28, s10, -v66
	v_mul_f16_e32 v67, 0xb836, v25
	v_add_f16_e32 v66, v66, v74
	v_fma_f16 v74, v24, s14, -v67
	v_add_f16_e32 v70, v74, v70
	v_mul_f16_e32 v74, 0xb836, v56
	v_fma_f16 v67, v24, s14, v67
	v_add_f16_e32 v64, v64, v75
	v_fma_f16 v75, v28, s14, v74
	v_add_f16_e32 v67, v67, v69
	v_fma_f16 v69, v28, s14, -v74
	v_mul_f16_e32 v74, 0x3a62, v25
	v_add_f16_e32 v69, v69, v76
	v_fma_f16 v76, v24, s12, -v74
	v_add_f16_e32 v72, v76, v72
	v_mul_f16_e32 v76, 0x3a62, v56
	v_fma_f16 v74, v24, s12, v74
	v_mul_f16_e32 v25, 0x3964, v25
	v_mul_f16_e32 v56, 0x3964, v56
	v_add_f16_e32 v68, v68, v77
	v_fma_f16 v77, v28, s12, v76
	v_add_f16_e32 v71, v74, v71
	v_fma_f16 v74, v28, s12, -v76
	v_fma_f16 v76, v24, s11, -v25
	v_fma_f16 v24, v24, s11, v25
	v_fma_f16 v25, v28, s11, -v56
	v_add_f16_e32 v23, v25, v23
	v_mul_f16_e32 v25, 0xbbb2, v46
	v_add_f16_e32 v73, v76, v73
	v_fma_f16 v76, v28, s11, v56
	v_add_f16_e32 v24, v24, v31
	v_fma_f16 v28, v43, s3, -v25
	v_mul_f16_e32 v31, 0xbbb2, v45
	v_fma_f16 v25, v43, s3, v25
	v_add_f16_e32 v28, v28, v40
	v_fma_f16 v40, v42, s3, v31
	v_add_f16_e32 v25, v25, v30
	v_fma_f16 v30, v42, s3, -v31
	v_mul_f16_e32 v31, 0x3836, v46
	v_add_f16_e32 v40, v40, v44
	v_add_f16_e32 v30, v30, v39
	v_fma_f16 v39, v43, s14, -v31
	v_mul_f16_e32 v44, 0x3836, v45
	v_fma_f16 v31, v43, s14, v31
	v_add_f16_e32 v39, v39, v52
	v_fma_f16 v52, v42, s14, v44
	v_add_f16_e32 v31, v31, v41
	v_fma_f16 v41, v42, s14, -v44
	v_mul_f16_e32 v44, 0x3964, v46
	v_add_f16_e32 v52, v52, v55
	v_add_f16_e32 v41, v41, v53
	v_fma_f16 v53, v43, s11, -v44
	v_mul_f16_e32 v55, 0x3964, v45
	v_fma_f16 v44, v43, s11, v44
	v_fma_f16 v56, v42, s11, v55
	v_add_f16_e32 v44, v44, v54
	v_fma_f16 v54, v42, s11, -v55
	v_mul_f16_e32 v55, 0xbb29, v46
	v_add_f16_e32 v53, v53, v57
	v_add_f16_e32 v54, v54, v58
	v_fma_f16 v57, v43, s10, -v55
	v_mul_f16_e32 v58, 0xbb29, v45
	v_fma_f16 v55, v43, s10, v55
	v_add_f16_e32 v56, v56, v60
	v_fma_f16 v60, v42, s10, v58
	v_add_f16_e32 v55, v55, v59
	v_fma_f16 v58, v42, s10, -v58
	v_mul_f16_e32 v59, 0xb1e1, v46
	v_add_f16_e32 v57, v57, v61
	v_add_f16_e32 v58, v58, v62
	v_fma_f16 v61, v43, s15, -v59
	v_mul_f16_e32 v62, 0xb1e1, v45
	v_fma_f16 v59, v43, s15, v59
	v_add_f16_e32 v60, v60, v64
	v_fma_f16 v64, v42, s15, v62
	v_add_f16_e32 v59, v59, v63
	v_fma_f16 v62, v42, s15, -v62
	v_mul_f16_e32 v63, 0x3bf7, v46
	v_add_f16_e32 v61, v61, v65
	v_add_f16_e32 v62, v62, v66
	v_fma_f16 v65, v43, s2, -v63
	v_mul_f16_e32 v66, 0x3bf7, v45
	v_fma_f16 v63, v43, s2, v63
	v_add_f16_e32 v64, v64, v68
	v_fma_f16 v68, v42, s2, v66
	v_add_f16_e32 v63, v63, v67
	v_fma_f16 v66, v42, s2, -v66
	v_mul_f16_e32 v67, 0xb5c8, v46
	v_add_f16_e32 v66, v66, v69
	v_fma_f16 v69, v43, s13, -v67
	v_fma_f16 v67, v43, s13, v67
	v_mul_f16_e32 v46, 0xba62, v46
	v_add_f16_e32 v65, v65, v70
	v_mul_f16_e32 v70, 0xb5c8, v45
	v_add_f16_e32 v67, v67, v71
	v_fma_f16 v71, v43, s12, -v46
	v_mul_f16_e32 v45, 0xba62, v45
	v_add_f16_e32 v69, v69, v72
	v_fma_f16 v72, v42, s13, v70
	v_fma_f16 v70, v42, s13, -v70
	v_add_f16_e32 v71, v71, v73
	v_fma_f16 v73, v42, s12, v45
	v_fma_f16 v42, v42, s12, -v45
	v_fma_f16 v43, v43, s12, v46
	v_add_f16_e32 v23, v42, v23
	v_mul_f16_e32 v42, 0xba62, v48
	v_add_f16_e32 v24, v43, v24
	v_fma_f16 v43, v35, s12, -v42
	v_add_f16_e32 v28, v43, v28
	v_mul_f16_e32 v43, 0xba62, v47
	v_fma_f16 v42, v35, s12, v42
	v_add_f16_e32 v25, v42, v25
	v_fma_f16 v42, v32, s12, -v43
	v_add_f16_e32 v30, v42, v30
	v_mul_f16_e32 v42, 0x3bb2, v48
	v_fma_f16 v45, v32, s12, v43
	v_fma_f16 v43, v35, s3, -v42
	v_add_f16_e32 v39, v43, v39
	v_mul_f16_e32 v43, 0x3bb2, v47
	v_fma_f16 v42, v35, s3, v42
	v_add_f16_e32 v31, v42, v31
	v_fma_f16 v42, v32, s3, -v43
	v_add_f16_e32 v41, v42, v41
	v_mul_f16_e32 v42, 0xb5c8, v48
	v_add_f16_e32 v40, v45, v40
	v_fma_f16 v45, v32, s3, v43
	v_fma_f16 v43, v35, s13, -v42
	v_mul_f16_e32 v46, 0xb5c8, v47
	v_fma_f16 v42, v35, s13, v42
	v_add_f16_e32 v45, v45, v52
	v_fma_f16 v52, v32, s13, v46
	v_add_f16_e32 v42, v42, v44
	v_fma_f16 v44, v32, s13, -v46
	v_mul_f16_e32 v46, 0xb836, v48
	v_add_f16_e32 v43, v43, v53
	v_add_f16_e32 v44, v44, v54
	v_fma_f16 v53, v35, s14, -v46
	v_mul_f16_e32 v54, 0xb836, v47
	v_fma_f16 v46, v35, s14, v46
	v_add_f16_e32 v52, v52, v56
	v_fma_f16 v56, v32, s14, v54
	v_add_f16_e32 v46, v46, v55
	v_fma_f16 v54, v32, s14, -v54
	v_mul_f16_e32 v55, 0x3bf7, v48
	v_add_f16_e32 v53, v53, v57
	v_add_f16_e32 v54, v54, v58
	;; [unrolled: 10-line block ×3, first 2 shown]
	v_add_f16_e32 v58, v58, v62
	v_fma_f16 v61, v35, s11, -v59
	v_mul_f16_e32 v62, 0xb964, v47
	v_fma_f16 v59, v35, s11, v59
	v_add_f16_e32 v75, v75, v79
	v_add_f16_e32 v60, v60, v64
	v_fma_f16 v64, v32, s11, v62
	v_add_f16_e32 v59, v59, v63
	v_fma_f16 v62, v32, s11, -v62
	v_mul_f16_e32 v63, 0xb1e1, v48
	v_add_f16_e32 v68, v68, v75
	v_add_f16_e32 v61, v61, v65
	;; [unrolled: 1-line block ×3, first 2 shown]
	v_fma_f16 v65, v35, s15, -v63
	v_mul_f16_e32 v66, 0xb1e1, v47
	v_mul_f16_e32 v47, 0x3b29, v47
	v_add_f16_e32 v64, v64, v68
	v_add_f16_e32 v65, v65, v69
	v_fma_f16 v68, v32, s15, v66
	v_fma_f16 v63, v35, s15, v63
	v_fma_f16 v66, v32, s15, -v66
	v_mul_f16_e32 v48, 0x3b29, v48
	v_fma_f16 v69, v32, s10, v47
	v_fma_f16 v32, v32, s10, -v47
	v_add_f16_e32 v63, v63, v67
	v_fma_f16 v67, v35, s10, -v48
	v_fma_f16 v35, v35, s10, v48
	v_add_f16_e32 v23, v32, v23
	v_mul_f16_e32 v32, 0xb836, v50
	v_add_f16_e32 v24, v35, v24
	v_fma_f16 v35, v34, s14, -v32
	v_add_f16_e32 v28, v35, v28
	v_mul_f16_e32 v35, 0xb836, v49
	v_fma_f16 v32, v34, s14, v32
	v_add_f16_e32 v25, v32, v25
	v_fma_f16 v32, v33, s14, -v35
	v_add_f16_e32 v30, v32, v30
	v_mul_f16_e32 v32, 0x3b29, v50
	v_fma_f16 v47, v33, s14, v35
	v_fma_f16 v35, v34, s10, -v32
	v_add_f16_e32 v35, v35, v39
	v_mul_f16_e32 v39, 0x3b29, v49
	v_fma_f16 v32, v34, s10, v32
	v_add_f16_e32 v40, v47, v40
	v_fma_f16 v47, v33, s10, v39
	v_add_f16_e32 v31, v32, v31
	v_fma_f16 v32, v33, s10, -v39
	v_mul_f16_e32 v39, 0xbbf7, v50
	v_add_f16_e32 v32, v32, v41
	v_fma_f16 v41, v34, s2, -v39
	v_add_f16_e32 v41, v41, v43
	v_mul_f16_e32 v43, 0xbbf7, v49
	v_fma_f16 v39, v34, s2, v39
	v_add_f16_e32 v45, v47, v45
	v_fma_f16 v47, v33, s2, v43
	v_add_f16_e32 v39, v39, v42
	v_fma_f16 v42, v33, s2, -v43
	v_mul_f16_e32 v43, 0x3a62, v50
	v_add_f16_e32 v42, v42, v44
	v_fma_f16 v44, v34, s12, -v43
	v_mul_f16_e32 v48, 0x3a62, v49
	v_fma_f16 v43, v34, s12, v43
	v_add_f16_e32 v47, v47, v52
	v_fma_f16 v52, v33, s12, v48
	v_add_f16_e32 v43, v43, v46
	v_fma_f16 v46, v33, s12, -v48
	v_mul_f16_e32 v48, 0xb5c8, v50
	v_add_f16_e32 v44, v44, v53
	v_add_f16_e32 v46, v46, v54
	v_fma_f16 v53, v34, s13, -v48
	v_mul_f16_e32 v54, 0xb5c8, v49
	v_fma_f16 v48, v34, s13, v48
	v_add_f16_e32 v52, v52, v56
	v_fma_f16 v56, v33, s13, v54
	v_add_f16_e32 v48, v48, v55
	v_fma_f16 v54, v33, s13, -v54
	v_mul_f16_e32 v55, 0xb1e1, v50
	v_add_f16_e32 v53, v53, v57
	;; [unrolled: 10-line block ×3, first 2 shown]
	v_add_f16_e32 v58, v58, v62
	v_fma_f16 v61, v34, s11, -v59
	v_mul_f16_e32 v62, 0x3964, v49
	v_mul_f16_e32 v49, 0xbbb2, v49
	v_add_f16_e32 v60, v60, v64
	v_add_f16_e32 v61, v61, v65
	v_fma_f16 v64, v33, s11, v62
	v_fma_f16 v59, v34, s11, v59
	v_fma_f16 v62, v33, s11, -v62
	v_mul_f16_e32 v50, 0xbbb2, v50
	v_fma_f16 v65, v33, s3, v49
	v_fma_f16 v33, v33, s3, -v49
	v_add_f16_e32 v59, v59, v63
	v_fma_f16 v63, v34, s3, -v50
	v_fma_f16 v34, v34, s3, v50
	v_add_f16_e32 v33, v33, v23
	v_mul_f16_e32 v23, 0xb1e1, v27
	v_add_f16_e32 v24, v34, v24
	v_fma_f16 v34, v29, s15, -v23
	v_add_f16_e32 v28, v34, v28
	v_mul_f16_e32 v34, 0xb1e1, v51
	v_fma_f16 v23, v29, s15, v23
	v_add_f16_e32 v23, v23, v25
	v_fma_f16 v25, v26, s15, -v34
	v_add_f16_e32 v30, v25, v30
	v_mul_f16_e32 v25, 0x35c8, v27
	v_fma_f16 v49, v26, s15, v34
	v_fma_f16 v34, v29, s13, -v25
	v_add_f16_e32 v34, v34, v35
	v_mul_f16_e32 v35, 0x35c8, v51
	v_fma_f16 v25, v29, s13, v25
	v_add_f16_e32 v25, v25, v31
	v_fma_f16 v31, v26, s13, -v35
	v_add_f16_e32 v31, v31, v32
	v_mul_f16_e32 v32, 0xb836, v27
	v_add_f16_e32 v40, v49, v40
	v_fma_f16 v49, v26, s13, v35
	v_fma_f16 v35, v29, s14, -v32
	v_add_f16_e32 v35, v35, v41
	v_mul_f16_e32 v41, 0xb836, v51
	v_fma_f16 v32, v29, s14, v32
	v_add_f16_e32 v45, v49, v45
	v_fma_f16 v49, v26, s14, v41
	v_add_f16_e32 v32, v32, v39
	v_fma_f16 v39, v26, s14, -v41
	v_mul_f16_e32 v41, 0x3964, v27
	v_add_f16_e32 v39, v39, v42
	v_fma_f16 v42, v29, s11, -v41
	v_add_f16_e32 v42, v42, v44
	v_mul_f16_e32 v44, 0x3964, v51
	v_fma_f16 v41, v29, s11, v41
	v_add_f16_e32 v47, v49, v47
	v_fma_f16 v49, v26, s11, v44
	v_add_f16_e32 v41, v41, v43
	v_fma_f16 v43, v26, s11, -v44
	v_mul_f16_e32 v44, 0xba62, v27
	v_add_f16_e32 v43, v43, v46
	v_fma_f16 v46, v29, s12, -v44
	v_mul_f16_e32 v50, 0xba62, v51
	v_fma_f16 v44, v29, s12, v44
	v_add_f16_e32 v49, v49, v52
	v_fma_f16 v52, v26, s12, v50
	v_add_f16_e32 v44, v44, v48
	v_fma_f16 v48, v26, s12, -v50
	v_mul_f16_e32 v50, 0x3b29, v27
	v_add_f16_e32 v84, v88, v84
	v_add_f16_e32 v46, v46, v53
	v_add_f16_e32 v48, v48, v54
	v_fma_f16 v53, v29, s10, -v50
	v_mul_f16_e32 v54, 0x3b29, v51
	v_fma_f16 v50, v29, s10, v50
	v_add_f16_e32 v85, v85, v86
	v_add_f16_e32 v81, v81, v84
	;; [unrolled: 1-line block ×3, first 2 shown]
	v_fma_f16 v56, v26, s10, v54
	v_add_f16_e32 v50, v50, v55
	v_fma_f16 v54, v26, s10, -v54
	v_mul_f16_e32 v55, 0xbbb2, v27
	v_add_f16_e32 v80, v80, v85
	v_add_f16_e32 v77, v77, v81
	;; [unrolled: 1-line block ×4, first 2 shown]
	v_fma_f16 v57, v29, s3, -v55
	v_mul_f16_e32 v58, 0xbbb2, v51
	v_fma_f16 v55, v29, s3, v55
	v_mul_f16_e32 v27, 0x3bf7, v27
	v_mul_f16_e32 v51, 0x3bf7, v51
	v_add_f16_e32 v78, v78, v83
	v_add_f16_e32 v76, v76, v80
	;; [unrolled: 1-line block ×5, first 2 shown]
	v_fma_f16 v60, v26, s3, v58
	v_add_f16_e32 v55, v55, v59
	v_fma_f16 v58, v26, s3, -v58
	v_fma_f16 v59, v29, s2, -v27
	v_fma_f16 v61, v26, s2, v51
	v_fma_f16 v27, v29, s2, v27
	v_fma_f16 v26, v26, s2, -v51
	s_movk_i32 s2, 0x44
	v_add_f16_e32 v74, v74, v78
	v_add_f16_e32 v73, v73, v76
	;; [unrolled: 1-line block ×4, first 2 shown]
	v_pack_b32_f16 v27, v28, v40
	v_pack_b32_f16 v0, v0, v1
	v_mad_u32_u24 v1, v6, s2, v36
	v_add_f16_e32 v70, v70, v74
	v_add_f16_e32 v67, v67, v71
	;; [unrolled: 1-line block ×4, first 2 shown]
	s_barrier
	ds_write2_b32 v1, v0, v27 offset1:1
	v_pack_b32_f16 v0, v35, v47
	v_pack_b32_f16 v27, v34, v45
	v_add_f16_e32 v66, v66, v70
	v_add_f16_e32 v63, v63, v67
	;; [unrolled: 1-line block ×4, first 2 shown]
	ds_write2_b32 v1, v27, v0 offset0:2 offset1:3
	v_pack_b32_f16 v0, v46, v52
	v_pack_b32_f16 v27, v42, v49
	v_add_f16_e32 v62, v62, v66
	v_add_f16_e32 v59, v59, v63
	;; [unrolled: 1-line block ×4, first 2 shown]
	ds_write2_b32 v1, v27, v0 offset0:4 offset1:5
	v_pack_b32_f16 v0, v57, v60
	v_pack_b32_f16 v27, v53, v56
	v_add_f16_e32 v58, v58, v62
	ds_write2_b32 v1, v27, v0 offset0:6 offset1:7
	v_pack_b32_f16 v0, v24, v26
	v_pack_b32_f16 v24, v59, v61
	ds_write2_b32 v1, v24, v0 offset0:8 offset1:9
	v_pack_b32_f16 v0, v50, v54
	v_pack_b32_f16 v24, v55, v58
	;; [unrolled: 3-line block ×4, first 2 shown]
	ds_write2_b32 v1, v24, v0 offset0:14 offset1:15
	v_pack_b32_f16 v0, v23, v30
	ds_write_b32 v1, v0 offset:64
	s_waitcnt lgkmcnt(0)
	s_barrier
	ds_read2_b32 v[24:25], v21 offset0:66 offset1:134
	v_lshl_add_u32 v41, v22, 2, v36
	v_lshl_add_u32 v40, v20, 2, v36
	ds_read2_b32 v[26:27], v19 offset0:74 offset1:142
	v_lshl_add_u32 v39, v18, 2, v36
	v_lshl_add_u32 v35, v12, 2, v36
	;; [unrolled: 3-line block ×3, first 2 shown]
	ds_read2_b32 v[0:1], v15 offset0:90 offset1:158
	v_lshl_add_u32 v32, v14, 2, v36
	ds_read_b32 v19, v9
	ds_read_b32 v21, v41
	;; [unrolled: 1-line block ×8, first 2 shown]
	v_cmp_gt_u32_e32 vcc, 34, v6
	v_lshlrev_b32_e32 v15, 2, v8
                                        ; implicit-def: $vgpr43
                                        ; implicit-def: $vgpr42
	s_and_saveexec_b64 s[2:3], vcc
	s_cbranch_execz .LBB0_14
; %bb.13:
	v_add3_u32 v23, 0, v15, v7
	ds_read_b32 v23, v23
	ds_read_b32 v42, v38 offset:4488
	s_waitcnt lgkmcnt(1)
	v_lshrrev_b32_e32 v30, 16, v23
	s_waitcnt lgkmcnt(0)
	v_lshrrev_b32_e32 v43, 16, v42
.LBB0_14:
	s_or_b64 exec, exec, s[2:3]
	s_mov_b32 s2, 0xf0f1
	v_mul_u32_u24_sdwa v31, v13, s2 dst_sel:DWORD dst_unused:UNUSED_PAD src0_sel:WORD_0 src1_sel:DWORD
	v_lshrrev_b32_e32 v50, 20, v31
	v_mul_lo_u16_e32 v31, 17, v50
	v_sub_u16_e32 v31, v13, v31
	v_mul_u32_u24_sdwa v13, v10, s2 dst_sel:DWORD dst_unused:UNUSED_PAD src0_sel:WORD_0 src1_sel:DWORD
	s_movk_i32 s3, 0xf1
	v_lshrrev_b32_e32 v51, 20, v13
	v_lshlrev_b32_e32 v54, 2, v31
	v_mul_lo_u16_sdwa v31, v20, s3 dst_sel:DWORD dst_unused:UNUSED_PAD src0_sel:BYTE_0 src1_sel:DWORD
	v_mul_lo_u16_e32 v13, 17, v51
	v_lshrrev_b16_e32 v63, 12, v31
	v_sub_u16_e32 v52, v10, v13
	v_mul_u32_u24_sdwa v13, v8, s2 dst_sel:DWORD dst_unused:UNUSED_PAD src0_sel:WORD_0 src1_sel:DWORD
	v_mul_lo_u16_e32 v31, 17, v63
	v_lshrrev_b32_e32 v13, 20, v13
	v_sub_u16_e32 v31, v20, v31
	v_mov_b32_e32 v64, 2
	v_mul_lo_u16_e32 v49, 17, v13
	v_mul_u32_u24_sdwa v57, v12, s2 dst_sel:DWORD dst_unused:UNUSED_PAD src0_sel:WORD_0 src1_sel:DWORD
	v_lshlrev_b32_sdwa v65, v64, v31 dst_sel:DWORD dst_unused:UNUSED_PAD src0_sel:DWORD src1_sel:BYTE_0
	v_mul_lo_u16_sdwa v31, v22, s3 dst_sel:DWORD dst_unused:UNUSED_PAD src0_sel:BYTE_0 src1_sel:DWORD
	v_sub_u16_e32 v49, v8, v49
	v_lshrrev_b32_e32 v57, 20, v57
	v_mul_u32_u24_sdwa v60, v18, s2 dst_sel:DWORD dst_unused:UNUSED_PAD src0_sel:WORD_0 src1_sel:DWORD
	v_lshrrev_b16_e32 v67, 12, v31
	v_lshlrev_b32_e32 v53, 2, v49
	v_mul_lo_u16_e32 v58, 17, v57
	v_lshrrev_b32_e32 v60, 20, v60
	v_mul_lo_u16_e32 v31, 17, v67
	global_load_dword v53, v53, s[8:9]
	v_lshlrev_b32_e32 v52, 2, v52
	v_sub_u16_e32 v58, v12, v58
	v_mul_lo_u16_e32 v61, 17, v60
	v_sub_u16_e32 v31, v22, v31
	global_load_dword v55, v52, s[8:9]
	global_load_dword v56, v54, s[8:9]
	v_lshlrev_b32_e32 v58, 2, v58
	v_sub_u16_e32 v61, v18, v61
	v_lshlrev_b32_sdwa v68, v64, v31 dst_sel:DWORD dst_unused:UNUSED_PAD src0_sel:DWORD src1_sel:BYTE_0
	v_mul_lo_u16_sdwa v31, v6, s3 dst_sel:DWORD dst_unused:UNUSED_PAD src0_sel:BYTE_0 src1_sel:DWORD
	global_load_dword v59, v58, s[8:9]
	v_lshlrev_b32_e32 v61, 2, v61
	global_load_dword v62, v61, s[8:9]
	v_lshrrev_b16_e32 v70, 12, v31
	v_mul_lo_u16_e32 v31, 17, v70
	global_load_dword v66, v65, s[8:9]
	global_load_dword v69, v68, s[8:9]
	v_sub_u16_e32 v31, v6, v31
	v_lshlrev_b32_sdwa v64, v64, v31 dst_sel:DWORD dst_unused:UNUSED_PAD src0_sel:DWORD src1_sel:BYTE_0
	global_load_dword v71, v64, s[8:9]
	v_mul_u32_u24_sdwa v31, v11, s2 dst_sel:DWORD dst_unused:UNUSED_PAD src0_sel:WORD_0 src1_sel:DWORD
	v_lshrrev_b32_e32 v72, 20, v31
	v_mul_lo_u16_e32 v31, 17, v72
	v_sub_u16_e32 v11, v11, v31
	v_lshlrev_b32_e32 v11, 2, v11
	global_load_dword v73, v11, s[8:9]
	s_mov_b32 s10, 0x5040100
	s_movk_i32 s3, 0x88
	v_perm_b32 v50, v50, v57, s10
	v_pk_mul_lo_u16 v50, v50, s3 op_sel_hi:[1,0]
	v_mov_b32_e32 v31, 0
	v_and_b32_e32 v57, 0xfff8, v50
	v_mad_u32_u24 v60, v60, s3, 0
	v_add_u32_sdwa v50, v31, v50 dst_sel:DWORD dst_unused:UNUSED_PAD src0_sel:DWORD src1_sel:WORD_1
	v_add_u32_e32 v57, 0, v57
	v_mad_u32_u24 v63, v63, s3, 0
	v_add3_u32 v60, v60, v61, v7
	v_add3_u32 v50, v50, v54, v7
	;; [unrolled: 1-line block ×3, first 2 shown]
	s_mov_b32 s2, 0xffff
	v_add3_u32 v63, v63, v65, v7
	v_mad_u32_u24 v70, v70, s3, 0
	v_mad_u32_u24 v67, v67, s3, 0
	v_add3_u32 v64, v70, v64, v7
	v_add3_u32 v67, v67, v68, v7
	s_waitcnt lgkmcnt(0)
	s_barrier
	s_waitcnt vmcnt(8)
	v_mul_f16_sdwa v57, v43, v53 dst_sel:DWORD dst_unused:UNUSED_PAD src0_sel:DWORD src1_sel:WORD_1
	v_mul_f16_sdwa v58, v42, v53 dst_sel:DWORD dst_unused:UNUSED_PAD src0_sel:DWORD src1_sel:WORD_1
	v_fma_f16 v42, v42, v53, -v57
	v_fma_f16 v43, v43, v53, v58
	s_waitcnt vmcnt(7)
	v_pk_mul_f16 v61, v55, v0 op_sel:[0,1]
	s_waitcnt vmcnt(6)
	v_pk_mul_f16 v65, v56, v29 op_sel:[0,1]
	v_pk_fma_f16 v53, v55, v0, v61 op_sel:[0,0,1] op_sel_hi:[1,1,0] neg_lo:[0,0,1] neg_hi:[0,0,1]
	v_pk_fma_f16 v0, v55, v0, v61 op_sel:[0,0,1] op_sel_hi:[1,0,0]
	v_pk_fma_f16 v55, v56, v29, v65 op_sel:[0,0,1] op_sel_hi:[1,1,0] neg_lo:[0,0,1] neg_hi:[0,0,1]
	v_pk_fma_f16 v29, v56, v29, v65 op_sel:[0,0,1] op_sel_hi:[1,0,0]
	v_bfi_b32 v0, s2, v53, v0
	s_waitcnt vmcnt(5)
	v_pk_mul_f16 v53, v59, v28 op_sel:[0,1]
	v_bfi_b32 v29, s2, v55, v29
	v_pk_fma_f16 v55, v59, v28, v53 op_sel:[0,0,1] op_sel_hi:[1,1,0] neg_lo:[0,0,1] neg_hi:[0,0,1]
	v_pk_fma_f16 v28, v59, v28, v53 op_sel:[0,0,1] op_sel_hi:[1,0,0]
	s_waitcnt vmcnt(4)
	v_pk_mul_f16 v53, v62, v27 op_sel:[0,1]
	v_bfi_b32 v28, s2, v55, v28
	v_pk_fma_f16 v55, v62, v27, v53 op_sel:[0,0,1] op_sel_hi:[1,1,0] neg_lo:[0,0,1] neg_hi:[0,0,1]
	v_pk_fma_f16 v27, v62, v27, v53 op_sel:[0,0,1] op_sel_hi:[1,0,0]
	;; [unrolled: 5-line block ×5, first 2 shown]
	v_pk_add_f16 v29, v47, v29 neg_lo:[0,1] neg_hi:[0,1]
	v_bfi_b32 v24, s2, v55, v24
	v_pk_add_f16 v24, v19, v24 neg_lo:[0,1] neg_hi:[0,1]
	v_pk_add_f16 v28, v46, v28 neg_lo:[0,1] neg_hi:[0,1]
	;; [unrolled: 1-line block ×5, first 2 shown]
	v_pk_fma_f16 v19, v19, 2.0, v24 op_sel_hi:[1,0,1] neg_lo:[0,0,1] neg_hi:[0,0,1]
	v_pk_fma_f16 v47, v47, 2.0, v29 op_sel_hi:[1,0,1] neg_lo:[0,0,1] neg_hi:[0,0,1]
	;; [unrolled: 1-line block ×6, first 2 shown]
	ds_write2_b32 v64, v19, v24 offset1:17
	ds_write2_b32 v67, v21, v25 offset1:17
	;; [unrolled: 1-line block ×6, first 2 shown]
	v_perm_b32 v19, v72, v51, s10
	v_pk_mul_lo_u16 v19, v19, s3 op_sel_hi:[1,0]
	v_pk_add_f16 v0, v48, v0 neg_lo:[0,1] neg_hi:[0,1]
	v_and_b32_e32 v21, 0xfff8, v19
	v_add_u32_e32 v21, 0, v21
	v_pk_fma_f16 v48, v48, 2.0, v0 op_sel_hi:[1,0,1] neg_lo:[0,0,1] neg_hi:[0,0,1]
	v_add3_u32 v21, v21, v52, v7
	ds_write2_b32 v21, v48, v0 offset1:17
	v_add_u32_sdwa v0, v31, v19 dst_sel:DWORD dst_unused:UNUSED_PAD src0_sel:DWORD src1_sel:WORD_1
	v_add3_u32 v0, v0, v11, v7
	s_waitcnt vmcnt(0)
	v_pk_mul_f16 v11, v1, v73 op_sel:[0,1]
	v_sub_f16_e32 v42, v23, v42
	v_pk_fma_f16 v19, v1, v73, v11 op_sel:[0,0,1] op_sel_hi:[1,1,0] neg_lo:[0,0,1] neg_hi:[0,0,1]
	v_pk_fma_f16 v1, v1, v73, v11 op_sel:[0,0,1] op_sel_hi:[1,0,0]
	v_sub_f16_e32 v43, v30, v43
	v_bfi_b32 v1, s2, v19, v1
	v_pk_add_f16 v1, v17, v1 neg_lo:[0,1] neg_hi:[0,1]
	s_nop 0
	v_pk_fma_f16 v11, v17, 2.0, v1 op_sel_hi:[1,0,1] neg_lo:[0,0,1] neg_hi:[0,0,1]
	ds_write2_b32 v0, v11, v1 offset1:17
	s_and_saveexec_b64 s[2:3], vcc
	s_cbranch_execz .LBB0_16
; %bb.15:
	v_mul_lo_u16_e32 v11, 34, v13
	v_fma_f16 v0, v23, 2.0, -v42
	v_fma_f16 v1, v30, 2.0, -v43
	v_lshl_add_u32 v13, v49, 2, 0
	v_lshlrev_b32_e32 v11, 2, v11
	v_add3_u32 v11, v13, v11, v7
	v_pack_b32_f16 v0, v0, v1
	v_perm_b32 v1, v43, v42, s10
	ds_write2_b32 v11, v0, v1 offset1:17
.LBB0_16:
	s_or_b64 exec, exec, s[2:3]
	v_subrev_u32_e32 v0, 34, v6
	v_cndmask_b32_e32 v1, v0, v6, vcc
	v_lshlrev_b32_e32 v30, 4, v1
	v_lshl_add_u64 v[52:53], v[30:31], 2, s[8:9]
	s_waitcnt lgkmcnt(0)
	s_barrier
	global_load_dwordx4 v[24:27], v[52:53], off offset:68
	global_load_dwordx4 v[28:31], v[52:53], off offset:84
	;; [unrolled: 1-line block ×4, first 2 shown]
	ds_read_b32 v60, v9
	ds_read_b32 v21, v41
	;; [unrolled: 1-line block ×8, first 2 shown]
	v_add3_u32 v11, 0, v15, v7
	v_add_u32_e32 v19, 0x800, v38
	v_add_u32_e32 v17, 0xa00, v38
	;; [unrolled: 1-line block ×4, first 2 shown]
	ds_read_b32 v66, v11
	ds_read2_b32 v[52:53], v19 offset0:100 offset1:168
	ds_read2_b32 v[54:55], v17 offset0:108 offset1:176
	;; [unrolled: 1-line block ×4, first 2 shown]
	s_waitcnt lgkmcnt(11)
	v_lshrrev_b32_e32 v71, 16, v21
	s_waitcnt lgkmcnt(4)
	v_lshrrev_b32_e32 v74, 16, v66
	v_lshrrev_b32_e32 v67, 16, v62
	;; [unrolled: 1-line block ×4, first 2 shown]
	s_waitcnt lgkmcnt(3)
	v_lshrrev_b32_e32 v75, 16, v52
	v_lshrrev_b32_e32 v76, 16, v53
	s_waitcnt lgkmcnt(2)
	v_lshrrev_b32_e32 v77, 16, v54
	v_lshrrev_b32_e32 v68, 16, v63
	;; [unrolled: 1-line block ×5, first 2 shown]
	s_waitcnt lgkmcnt(1)
	v_lshrrev_b32_e32 v79, 16, v56
	v_lshrrev_b32_e32 v80, 16, v57
	s_waitcnt lgkmcnt(0)
	v_lshrrev_b32_e32 v81, 16, v58
	v_lshrrev_b32_e32 v82, 16, v59
	s_movk_i32 s12, 0x3b76
	s_movk_i32 s10, 0x39e9
	;; [unrolled: 1-line block ×4, first 2 shown]
	s_mov_b32 s11, 0xb461
	s_mov_b32 s13, 0xb8d2
	v_lshlrev_b32_e32 v1, 2, v1
	s_barrier
	s_waitcnt vmcnt(3)
	v_mul_f16_e32 v83, v24, v21
	v_lshrrev_b32_e32 v84, 16, v24
	v_pk_mul_f16 v21, v24, v21 op_sel:[0,1] op_sel_hi:[1,0]
	v_mul_f16_e32 v24, v25, v23
	v_lshrrev_b32_e32 v85, 16, v25
	v_pk_mul_f16 v23, v25, v23 op_sel:[0,1] op_sel_hi:[1,0]
	v_mul_f16_e32 v25, v26, v61
	v_lshrrev_b32_e32 v86, 16, v26
	s_waitcnt vmcnt(2)
	v_mul_f16_sdwa v94, v74, v31 dst_sel:DWORD dst_unused:UNUSED_PAD src0_sel:DWORD src1_sel:WORD_1
	v_mul_f16_sdwa v95, v66, v31 dst_sel:DWORD dst_unused:UNUSED_PAD src0_sel:DWORD src1_sel:WORD_1
	v_fma_f16 v71, -v84, v71, v83
	v_add_f16_sdwa v83, v21, v21 dst_sel:DWORD dst_unused:UNUSED_PAD src0_sel:DWORD src1_sel:WORD_1
	s_waitcnt vmcnt(1)
	v_mul_f16_sdwa v21, v53, v45 dst_sel:DWORD dst_unused:UNUSED_PAD src0_sel:DWORD src1_sel:WORD_1
	v_pk_mul_f16 v26, v26, v61 op_sel:[0,1] op_sel_hi:[1,0]
	v_mul_f16_sdwa v61, v67, v27 dst_sel:DWORD dst_unused:UNUSED_PAD src0_sel:DWORD src1_sel:WORD_1
	v_mul_f16_sdwa v87, v62, v27 dst_sel:DWORD dst_unused:UNUSED_PAD src0_sel:DWORD src1_sel:WORD_1
	;; [unrolled: 1-line block ×4, first 2 shown]
	v_fma_f16 v72, -v85, v72, v24
	v_fma_f16 v73, -v86, v73, v25
	v_fma_f16 v24, v66, v31, -v94
	v_fma_f16 v25, v74, v31, v95
	v_fma_f16 v31, v76, v45, v21
	v_mul_f16_sdwa v21, v77, v46 dst_sel:DWORD dst_unused:UNUSED_PAD src0_sel:DWORD src1_sel:WORD_1
	v_mul_f16_sdwa v88, v68, v28 dst_sel:DWORD dst_unused:UNUSED_PAD src0_sel:DWORD src1_sel:WORD_1
	;; [unrolled: 1-line block ×8, first 2 shown]
	v_add_f16_sdwa v85, v26, v26 dst_sel:DWORD dst_unused:UNUSED_PAD src0_sel:DWORD src1_sel:WORD_1
	v_fma_f16 v61, v62, v27, -v61
	v_fma_f16 v62, v67, v27, v87
	v_fma_f16 v26, v52, v44, -v96
	v_fma_f16 v27, v75, v44, v97
	v_fma_f16 v44, v54, v46, -v21
	v_mul_f16_sdwa v21, v54, v46 dst_sel:DWORD dst_unused:UNUSED_PAD src0_sel:DWORD src1_sel:WORD_1
	v_fma_f16 v63, v63, v28, -v88
	v_fma_f16 v67, v68, v28, v89
	v_fma_f16 v64, v64, v29, -v90
	v_fma_f16 v68, v69, v29, v91
	;; [unrolled: 2-line block ×4, first 2 shown]
	v_mul_f16_sdwa v21, v78, v47 dst_sel:DWORD dst_unused:UNUSED_PAD src0_sel:DWORD src1_sel:WORD_1
	v_fma_f16 v46, v55, v47, -v21
	v_mul_f16_sdwa v21, v55, v47 dst_sel:DWORD dst_unused:UNUSED_PAD src0_sel:DWORD src1_sel:WORD_1
	v_fma_f16 v47, v78, v47, v21
	s_waitcnt vmcnt(0)
	v_mul_f16_sdwa v21, v79, v48 dst_sel:DWORD dst_unused:UNUSED_PAD src0_sel:DWORD src1_sel:WORD_1
	v_fma_f16 v52, v56, v48, -v21
	v_mul_f16_sdwa v21, v56, v48 dst_sel:DWORD dst_unused:UNUSED_PAD src0_sel:DWORD src1_sel:WORD_1
	v_fma_f16 v48, v79, v48, v21
	v_mul_f16_sdwa v21, v80, v49 dst_sel:DWORD dst_unused:UNUSED_PAD src0_sel:DWORD src1_sel:WORD_1
	v_fma_f16 v53, v57, v49, -v21
	v_mul_f16_sdwa v21, v57, v49 dst_sel:DWORD dst_unused:UNUSED_PAD src0_sel:DWORD src1_sel:WORD_1
	v_fma_f16 v49, v80, v49, v21
	v_mul_f16_sdwa v21, v81, v50 dst_sel:DWORD dst_unused:UNUSED_PAD src0_sel:DWORD src1_sel:WORD_1
	v_fma_f16 v54, v58, v50, -v21
	v_mul_f16_sdwa v21, v58, v50 dst_sel:DWORD dst_unused:UNUSED_PAD src0_sel:DWORD src1_sel:WORD_1
	v_fma_f16 v50, v81, v50, v21
	v_mul_f16_sdwa v21, v82, v51 dst_sel:DWORD dst_unused:UNUSED_PAD src0_sel:DWORD src1_sel:WORD_1
	v_fma_f16 v55, v59, v51, -v21
	v_mul_f16_sdwa v21, v59, v51 dst_sel:DWORD dst_unused:UNUSED_PAD src0_sel:DWORD src1_sel:WORD_1
	v_add_f16_sdwa v84, v23, v23 dst_sel:DWORD dst_unused:UNUSED_PAD src0_sel:DWORD src1_sel:WORD_1
	v_fma_f16 v51, v82, v51, v21
	v_add_f16_e32 v21, v71, v60
	v_add_f16_sdwa v23, v83, v60 dst_sel:DWORD dst_unused:UNUSED_PAD src0_sel:DWORD src1_sel:WORD_1
	v_add_f16_e32 v21, v21, v72
	v_add_f16_e32 v23, v23, v84
	v_add_f16_e32 v21, v21, v73
	v_add_f16_e32 v23, v23, v85
	v_add_f16_e32 v21, v21, v61
	v_add_f16_e32 v23, v23, v62
	v_add_f16_e32 v21, v21, v63
	v_add_f16_e32 v23, v23, v67
	v_add_f16_e32 v21, v21, v64
	v_add_f16_e32 v23, v23, v68
	v_add_f16_e32 v21, v21, v28
	v_add_f16_e32 v23, v23, v29
	v_add_f16_e32 v21, v21, v24
	v_add_f16_e32 v23, v23, v25
	v_add_f16_e32 v21, v21, v26
	v_add_f16_e32 v23, v23, v27
	v_add_f16_e32 v21, v21, v30
	v_add_f16_e32 v23, v23, v31
	v_add_f16_e32 v21, v21, v44
	v_add_f16_e32 v23, v23, v45
	v_add_f16_e32 v21, v21, v46
	v_add_f16_e32 v23, v23, v47
	v_add_f16_e32 v21, v21, v52
	v_add_f16_e32 v23, v23, v48
	v_add_f16_e32 v21, v21, v53
	v_add_f16_e32 v23, v23, v49
	v_add_f16_e32 v21, v21, v54
	v_add_f16_e32 v23, v23, v50
	v_add_f16_e32 v21, v21, v55
	v_add_f16_e32 v23, v23, v51
	v_add_f16_e32 v56, v71, v55
	v_add_f16_e32 v57, v83, v51
	v_sub_f16_e32 v55, v71, v55
	v_sub_f16_e32 v51, v83, v51
	v_mul_f16_e32 v58, 0xb5c8, v51
	v_mul_f16_e32 v65, 0xb5c8, v55
	;; [unrolled: 1-line block ×16, first 2 shown]
	v_fma_f16 v59, v56, s12, -v58
	v_fma_f16 v66, v57, s12, v65
	v_fma_f16 v58, v56, s12, v58
	v_fma_f16 v65, v57, s12, -v65
	v_fma_f16 v70, v56, s10, -v69
	v_fma_f16 v74, v57, s10, v71
	v_fma_f16 v69, v56, s10, v69
	v_fma_f16 v71, v57, s10, -v71
	;; [unrolled: 4-line block ×8, first 2 shown]
	v_add_f16_e32 v57, v84, v50
	v_sub_f16_e32 v50, v84, v50
	v_add_f16_e32 v59, v59, v60
	v_add_f16_sdwa v66, v66, v60 dst_sel:DWORD dst_unused:UNUSED_PAD src0_sel:DWORD src1_sel:WORD_1
	v_add_f16_e32 v58, v58, v60
	v_add_f16_sdwa v65, v65, v60 dst_sel:DWORD dst_unused:UNUSED_PAD src0_sel:DWORD src1_sel:WORD_1
	;; [unrolled: 2-line block ×16, first 2 shown]
	v_add_f16_e32 v56, v72, v54
	v_mul_f16_e32 v60, 0xb964, v50
	v_sub_f16_e32 v54, v72, v54
	v_fma_f16 v72, v56, s10, -v60
	v_add_f16_e32 v59, v72, v59
	v_mul_f16_e32 v72, 0xb964, v54
	v_fma_f16 v60, v56, s10, v60
	v_add_f16_e32 v58, v60, v58
	v_fma_f16 v60, v57, s10, -v72
	v_add_f16_e32 v60, v60, v65
	v_mul_f16_e32 v65, 0xbbf7, v50
	v_fma_f16 v84, v57, s10, v72
	v_fma_f16 v72, v56, s2, -v65
	v_add_f16_e32 v70, v72, v70
	v_mul_f16_e32 v72, 0xbbf7, v54
	v_fma_f16 v65, v56, s2, v65
	v_add_f16_e32 v65, v65, v69
	v_fma_f16 v69, v57, s2, -v72
	v_add_f16_e32 v69, v69, v71
	v_mul_f16_e32 v71, 0xba62, v50
	v_add_f16_e32 v66, v84, v66
	v_fma_f16 v84, v57, s2, v72
	v_fma_f16 v72, v56, s13, -v71
	v_add_f16_e32 v72, v72, v76
	v_mul_f16_e32 v76, 0xba62, v54
	v_fma_f16 v71, v56, s13, v71
	v_add_f16_e32 v74, v84, v74
	v_fma_f16 v84, v57, s13, v76
	v_add_f16_e32 v71, v71, v75
	v_fma_f16 v75, v57, s13, -v76
	v_mul_f16_e32 v76, 0xb1e1, v50
	v_add_f16_e32 v75, v75, v77
	v_fma_f16 v77, v56, s15, -v76
	v_add_f16_e32 v77, v77, v80
	v_mul_f16_e32 v80, 0xb1e1, v54
	v_fma_f16 v76, v56, s15, v76
	v_add_f16_e32 v78, v84, v78
	v_fma_f16 v84, v57, s15, v80
	v_add_f16_e32 v76, v76, v79
	v_fma_f16 v79, v57, s15, -v80
	v_mul_f16_e32 v80, 0x3836, v50
	v_add_f16_e32 v82, v84, v82
	v_add_f16_e32 v79, v79, v81
	v_fma_f16 v81, v56, s14, -v80
	v_mul_f16_e32 v84, 0x3836, v54
	v_fma_f16 v80, v56, s14, v80
	v_add_f16_e32 v81, v81, v86
	v_fma_f16 v86, v57, s14, v84
	v_add_f16_e32 v80, v80, v83
	v_fma_f16 v83, v57, s14, -v84
	v_mul_f16_e32 v84, 0x3bb2, v50
	v_add_f16_e32 v86, v86, v88
	v_add_f16_e32 v83, v83, v87
	v_fma_f16 v87, v56, s11, -v84
	v_mul_f16_e32 v88, 0x3bb2, v54
	v_fma_f16 v84, v56, s11, v84
	v_add_f16_e32 v87, v87, v90
	v_fma_f16 v90, v57, s11, v88
	v_add_f16_e32 v84, v84, v89
	v_fma_f16 v88, v57, s11, -v88
	v_mul_f16_e32 v89, 0x3b29, v50
	v_add_f16_e32 v88, v88, v91
	v_fma_f16 v91, v56, s3, -v89
	v_fma_f16 v89, v56, s3, v89
	v_mul_f16_e32 v50, 0x35c8, v50
	v_add_f16_e32 v90, v90, v92
	v_mul_f16_e32 v92, 0x3b29, v54
	v_add_f16_e32 v89, v89, v93
	v_fma_f16 v93, v56, s12, -v50
	v_mul_f16_e32 v54, 0x35c8, v54
	v_fma_f16 v50, v56, s12, v50
	v_add_f16_e32 v50, v50, v51
	v_fma_f16 v51, v57, s12, -v54
	v_add_f16_e32 v91, v91, v94
	v_fma_f16 v94, v57, s3, v92
	v_fma_f16 v92, v57, s3, -v92
	v_add_f16_e32 v51, v51, v55
	v_add_f16_e32 v55, v85, v49
	v_sub_f16_e32 v49, v85, v49
	v_add_f16_e32 v92, v92, v95
	v_fma_f16 v95, v57, s12, v54
	v_add_f16_e32 v54, v73, v53
	v_mul_f16_e32 v56, 0xbb29, v49
	v_sub_f16_e32 v53, v73, v53
	v_fma_f16 v57, v54, s3, -v56
	v_add_f16_e32 v57, v57, v59
	v_mul_f16_e32 v59, 0xbb29, v53
	v_fma_f16 v56, v54, s3, v56
	v_fma_f16 v73, v55, s3, v59
	v_add_f16_e32 v56, v56, v58
	v_fma_f16 v58, v55, s3, -v59
	v_mul_f16_e32 v59, 0xba62, v49
	v_add_f16_e32 v58, v58, v60
	v_fma_f16 v60, v54, s13, -v59
	v_add_f16_e32 v60, v60, v70
	v_mul_f16_e32 v70, 0xba62, v53
	v_fma_f16 v59, v54, s13, v59
	v_add_f16_e32 v59, v59, v65
	v_fma_f16 v65, v55, s13, -v70
	v_add_f16_e32 v65, v65, v69
	v_mul_f16_e32 v69, 0x31e1, v49
	v_add_f16_e32 v66, v73, v66
	v_fma_f16 v73, v55, s13, v70
	v_fma_f16 v70, v54, s15, -v69
	v_add_f16_e32 v70, v70, v72
	v_mul_f16_e32 v72, 0x31e1, v53
	v_fma_f16 v69, v54, s15, v69
	v_add_f16_e32 v73, v73, v74
	v_fma_f16 v74, v55, s15, v72
	v_add_f16_e32 v69, v69, v71
	v_fma_f16 v71, v55, s15, -v72
	v_mul_f16_e32 v72, 0x3bb2, v49
	v_add_f16_e32 v71, v71, v75
	v_fma_f16 v75, v54, s11, -v72
	v_add_f16_e32 v75, v75, v77
	v_mul_f16_e32 v77, 0x3bb2, v53
	v_fma_f16 v72, v54, s11, v72
	v_add_f16_e32 v74, v74, v78
	v_fma_f16 v78, v55, s11, v77
	v_add_f16_e32 v72, v72, v76
	v_fma_f16 v76, v55, s11, -v77
	v_mul_f16_e32 v77, 0x3964, v49
	v_add_f16_e32 v76, v76, v79
	;; [unrolled: 10-line block ×3, first 2 shown]
	v_fma_f16 v83, v54, s12, -v81
	v_mul_f16_e32 v85, 0xb5c8, v53
	v_fma_f16 v81, v54, s12, v81
	v_add_f16_e32 v82, v82, v86
	v_fma_f16 v86, v55, s12, v85
	v_add_f16_e32 v81, v81, v84
	v_fma_f16 v84, v55, s12, -v85
	v_mul_f16_e32 v85, 0xbbf7, v49
	v_add_f16_e32 v83, v83, v87
	v_fma_f16 v87, v54, s2, -v85
	v_fma_f16 v85, v54, s2, v85
	v_mul_f16_e32 v49, 0xb836, v49
	v_add_f16_e32 v84, v84, v88
	v_mul_f16_e32 v88, 0xbbf7, v53
	v_add_f16_e32 v85, v85, v89
	v_fma_f16 v89, v54, s14, -v49
	v_mul_f16_e32 v53, 0xb836, v53
	v_fma_f16 v49, v54, s14, v49
	v_add_f16_e32 v87, v87, v91
	v_fma_f16 v91, v55, s14, v53
	v_add_f16_e32 v49, v49, v50
	v_fma_f16 v50, v55, s14, -v53
	v_add_f16_e32 v53, v62, v48
	v_sub_f16_e32 v48, v62, v48
	v_add_f16_e32 v50, v50, v51
	v_add_f16_e32 v51, v61, v52
	v_mul_f16_e32 v54, 0xbbf7, v48
	v_add_f16_e32 v86, v86, v90
	v_fma_f16 v90, v55, s2, v88
	v_fma_f16 v88, v55, s2, -v88
	v_sub_f16_e32 v52, v61, v52
	v_fma_f16 v55, v51, s2, -v54
	v_add_f16_e32 v55, v55, v57
	v_mul_f16_e32 v57, 0xbbf7, v52
	v_fma_f16 v54, v51, s2, v54
	v_fma_f16 v61, v53, s2, v57
	v_add_f16_e32 v54, v54, v56
	v_fma_f16 v56, v53, s2, -v57
	v_mul_f16_e32 v57, 0xb1e1, v48
	v_add_f16_e32 v56, v56, v58
	v_fma_f16 v58, v51, s15, -v57
	v_add_f16_e32 v58, v58, v60
	v_mul_f16_e32 v60, 0xb1e1, v52
	v_fma_f16 v57, v51, s15, v57
	v_fma_f16 v62, v53, s15, v60
	v_add_f16_e32 v57, v57, v59
	v_fma_f16 v59, v53, s15, -v60
	v_mul_f16_e32 v60, 0x3bb2, v48
	v_add_f16_e32 v61, v61, v66
	v_add_f16_e32 v59, v59, v65
	v_fma_f16 v65, v51, s11, -v60
	v_mul_f16_e32 v66, 0x3bb2, v52
	v_fma_f16 v60, v51, s11, v60
	v_add_f16_e32 v65, v65, v70
	v_fma_f16 v70, v53, s11, v66
	v_add_f16_e32 v60, v60, v69
	v_fma_f16 v66, v53, s11, -v66
	v_mul_f16_e32 v69, 0x35c8, v48
	v_add_f16_e32 v62, v62, v73
	v_add_f16_e32 v66, v66, v71
	v_fma_f16 v71, v51, s12, -v69
	v_mul_f16_e32 v73, 0x35c8, v52
	v_fma_f16 v69, v51, s12, v69
	v_add_f16_e32 v70, v70, v74
	v_fma_f16 v74, v53, s12, v73
	v_add_f16_e32 v69, v69, v72
	v_fma_f16 v72, v53, s12, -v73
	v_mul_f16_e32 v73, 0xbb29, v48
	v_add_f16_e32 v71, v71, v75
	v_fma_f16 v75, v51, s3, -v73
	v_fma_f16 v73, v51, s3, v73
	v_add_f16_e32 v72, v72, v76
	v_mul_f16_e32 v76, 0xbb29, v52
	v_add_f16_e32 v73, v73, v77
	v_mul_f16_e32 v77, 0xb836, v48
	v_add_f16_e32 v74, v74, v78
	v_add_f16_e32 v75, v75, v79
	v_fma_f16 v78, v53, s3, v76
	v_fma_f16 v76, v53, s3, -v76
	v_fma_f16 v79, v51, s14, -v77
	v_fma_f16 v77, v51, s14, v77
	v_add_f16_e32 v76, v76, v80
	v_mul_f16_e32 v80, 0xb836, v52
	v_add_f16_e32 v77, v77, v81
	v_mul_f16_e32 v81, 0x3a62, v48
	v_add_f16_e32 v78, v78, v82
	v_add_f16_e32 v79, v79, v83
	v_fma_f16 v82, v53, s14, v80
	v_fma_f16 v80, v53, s14, -v80
	v_fma_f16 v83, v51, s13, -v81
	v_fma_f16 v81, v51, s13, v81
	v_mul_f16_e32 v48, 0x3964, v48
	v_add_f16_e32 v80, v80, v84
	v_mul_f16_e32 v84, 0x3a62, v52
	v_add_f16_e32 v81, v81, v85
	v_fma_f16 v85, v51, s10, -v48
	v_mul_f16_e32 v52, 0x3964, v52
	v_fma_f16 v48, v51, s10, v48
	v_add_f16_e32 v48, v48, v49
	v_fma_f16 v49, v53, s10, -v52
	v_add_f16_e32 v51, v67, v47
	v_sub_f16_e32 v47, v67, v47
	v_add_f16_e32 v83, v83, v87
	v_fma_f16 v87, v53, s10, v52
	v_add_f16_e32 v49, v49, v50
	v_add_f16_e32 v50, v63, v46
	v_mul_f16_e32 v52, 0xbbb2, v47
	v_add_f16_e32 v82, v82, v86
	v_fma_f16 v86, v53, s13, v84
	v_fma_f16 v84, v53, s13, -v84
	v_sub_f16_e32 v46, v63, v46
	v_fma_f16 v53, v50, s11, -v52
	v_add_f16_e32 v53, v53, v55
	v_mul_f16_e32 v55, 0xbbb2, v46
	v_fma_f16 v52, v50, s11, v52
	v_fma_f16 v63, v51, s11, v55
	v_add_f16_e32 v52, v52, v54
	v_fma_f16 v54, v51, s11, -v55
	v_mul_f16_e32 v55, 0x3836, v47
	v_add_f16_e32 v54, v54, v56
	v_fma_f16 v56, v50, s14, -v55
	v_add_f16_e32 v56, v56, v58
	v_mul_f16_e32 v58, 0x3836, v46
	v_fma_f16 v55, v50, s14, v55
	v_add_f16_e32 v61, v63, v61
	v_fma_f16 v63, v51, s14, v58
	v_add_f16_e32 v55, v55, v57
	v_fma_f16 v57, v51, s14, -v58
	v_mul_f16_e32 v58, 0x3964, v47
	v_add_f16_e32 v62, v63, v62
	v_add_f16_e32 v57, v57, v59
	v_fma_f16 v59, v50, s10, -v58
	v_mul_f16_e32 v63, 0x3964, v46
	v_fma_f16 v58, v50, s10, v58
	v_add_f16_e32 v59, v59, v65
	v_fma_f16 v65, v51, s10, v63
	v_add_f16_e32 v58, v58, v60
	v_fma_f16 v60, v51, s10, -v63
	v_mul_f16_e32 v63, 0xbb29, v47
	v_add_f16_e32 v60, v60, v66
	v_fma_f16 v66, v50, s3, -v63
	v_mul_f16_e32 v67, 0xbb29, v46
	v_fma_f16 v63, v50, s3, v63
	v_add_f16_e32 v65, v65, v70
	v_fma_f16 v70, v51, s3, v67
	v_add_f16_e32 v63, v63, v69
	v_fma_f16 v67, v51, s3, -v67
	v_mul_f16_e32 v69, 0xb1e1, v47
	v_add_f16_e32 v66, v66, v71
	v_add_f16_e32 v67, v67, v72
	v_fma_f16 v71, v50, s15, -v69
	v_mul_f16_e32 v72, 0xb1e1, v46
	v_fma_f16 v69, v50, s15, v69
	v_add_f16_e32 v70, v70, v74
	v_fma_f16 v74, v51, s15, v72
	v_add_f16_e32 v69, v69, v73
	v_fma_f16 v72, v51, s15, -v72
	v_mul_f16_e32 v73, 0x3bf7, v47
	v_add_f16_e32 v71, v71, v75
	;; [unrolled: 10-line block ×3, first 2 shown]
	v_add_f16_e32 v76, v76, v80
	v_fma_f16 v79, v50, s12, -v77
	v_mul_f16_e32 v80, 0xb5c8, v46
	v_mul_f16_e32 v46, 0xba62, v46
	v_add_f16_e32 v79, v79, v83
	v_fma_f16 v77, v50, s12, v77
	v_mul_f16_e32 v47, 0xba62, v47
	v_fma_f16 v83, v51, s13, v46
	v_fma_f16 v46, v51, s13, -v46
	v_add_f16_e32 v77, v77, v81
	v_fma_f16 v81, v50, s13, -v47
	v_fma_f16 v47, v50, s13, v47
	v_add_f16_e32 v46, v46, v49
	v_add_f16_e32 v49, v68, v45
	v_sub_f16_e32 v45, v68, v45
	v_add_f16_e32 v47, v47, v48
	v_add_f16_e32 v48, v64, v44
	v_mul_f16_e32 v50, 0xba62, v45
	v_add_f16_e32 v78, v78, v82
	v_fma_f16 v82, v51, s12, v80
	v_fma_f16 v80, v51, s12, -v80
	v_sub_f16_e32 v44, v64, v44
	v_fma_f16 v51, v48, s13, -v50
	v_add_f16_e32 v51, v51, v53
	v_mul_f16_e32 v53, 0xba62, v44
	v_fma_f16 v50, v48, s13, v50
	v_fma_f16 v64, v49, s13, v53
	v_add_f16_e32 v50, v50, v52
	v_fma_f16 v52, v49, s13, -v53
	v_mul_f16_e32 v53, 0x3bb2, v45
	v_add_f16_e32 v52, v52, v54
	v_fma_f16 v54, v48, s11, -v53
	v_add_f16_e32 v54, v54, v56
	v_mul_f16_e32 v56, 0x3bb2, v44
	v_fma_f16 v53, v48, s11, v53
	v_add_f16_e32 v61, v64, v61
	v_fma_f16 v64, v49, s11, v56
	v_add_f16_e32 v53, v53, v55
	v_fma_f16 v55, v49, s11, -v56
	v_mul_f16_e32 v56, 0xb5c8, v45
	v_add_f16_e32 v55, v55, v57
	v_fma_f16 v57, v48, s12, -v56
	v_add_f16_e32 v57, v57, v59
	v_mul_f16_e32 v59, 0xb5c8, v44
	v_fma_f16 v56, v48, s12, v56
	v_add_f16_e32 v62, v64, v62
	v_fma_f16 v64, v49, s12, v59
	v_add_f16_e32 v56, v56, v58
	v_fma_f16 v58, v49, s12, -v59
	v_mul_f16_e32 v59, 0xb836, v45
	v_add_f16_e32 v64, v64, v65
	v_add_f16_e32 v58, v58, v60
	v_fma_f16 v60, v48, s14, -v59
	v_mul_f16_e32 v65, 0xb836, v44
	v_fma_f16 v59, v48, s14, v59
	v_add_f16_e32 v60, v60, v66
	v_fma_f16 v66, v49, s14, v65
	v_add_f16_e32 v59, v59, v63
	v_fma_f16 v63, v49, s14, -v65
	v_mul_f16_e32 v65, 0x3bf7, v45
	v_add_f16_e32 v63, v63, v67
	v_fma_f16 v67, v48, s2, -v65
	v_fma_f16 v65, v48, s2, v65
	v_mul_f16_e32 v68, 0x3bf7, v44
	v_add_f16_e32 v65, v65, v69
	v_mul_f16_e32 v69, 0xb964, v45
	v_add_f16_e32 v66, v66, v70
	v_add_f16_e32 v67, v67, v71
	v_fma_f16 v70, v49, s2, v68
	v_fma_f16 v68, v49, s2, -v68
	v_fma_f16 v71, v48, s10, -v69
	v_fma_f16 v69, v48, s10, v69
	v_add_f16_e32 v68, v68, v72
	v_mul_f16_e32 v72, 0xb964, v44
	v_add_f16_e32 v69, v69, v73
	v_mul_f16_e32 v73, 0xb1e1, v45
	v_add_f16_e32 v70, v70, v74
	v_add_f16_e32 v71, v71, v75
	v_fma_f16 v74, v49, s10, v72
	v_fma_f16 v72, v49, s10, -v72
	v_fma_f16 v75, v48, s15, -v73
	v_fma_f16 v73, v48, s15, v73
	v_mul_f16_e32 v45, 0x3b29, v45
	v_add_f16_e32 v72, v72, v76
	v_mul_f16_e32 v76, 0xb1e1, v44
	v_add_f16_e32 v73, v73, v77
	v_fma_f16 v77, v48, s3, -v45
	v_mul_f16_e32 v44, 0x3b29, v44
	v_fma_f16 v45, v48, s3, v45
	v_add_f16_e32 v75, v75, v79
	v_fma_f16 v79, v49, s3, v44
	v_add_f16_e32 v45, v45, v47
	v_fma_f16 v44, v49, s3, -v44
	v_add_f16_e32 v47, v29, v31
	v_sub_f16_e32 v29, v29, v31
	v_add_f16_e32 v44, v44, v46
	v_add_f16_e32 v46, v28, v30
	v_sub_f16_e32 v28, v28, v30
	v_mul_f16_e32 v30, 0xb836, v29
	v_fma_f16 v31, v46, s14, -v30
	v_mul_f16_e32 v48, 0xb836, v28
	v_fma_f16 v30, v46, s14, v30
	v_add_f16_e32 v74, v74, v78
	v_fma_f16 v78, v49, s15, v76
	v_fma_f16 v76, v49, s15, -v76
	v_fma_f16 v49, v47, s14, v48
	v_add_f16_e32 v30, v30, v50
	v_fma_f16 v48, v47, s14, -v48
	v_mul_f16_e32 v50, 0x3b29, v29
	v_add_f16_e32 v31, v31, v51
	v_add_f16_e32 v48, v48, v52
	v_fma_f16 v51, v46, s3, -v50
	v_mul_f16_e32 v52, 0x3b29, v28
	v_fma_f16 v50, v46, s3, v50
	v_add_f16_e32 v51, v51, v54
	v_fma_f16 v54, v47, s3, v52
	v_add_f16_e32 v50, v50, v53
	v_fma_f16 v52, v47, s3, -v52
	v_mul_f16_e32 v53, 0xbbf7, v29
	v_add_f16_e32 v52, v52, v55
	v_fma_f16 v55, v46, s2, -v53
	v_add_f16_e32 v55, v55, v57
	v_mul_f16_e32 v57, 0xbbf7, v28
	v_fma_f16 v53, v46, s2, v53
	v_add_f16_e32 v49, v49, v61
	v_fma_f16 v61, v47, s2, v57
	v_add_f16_e32 v53, v53, v56
	v_fma_f16 v56, v47, s2, -v57
	v_mul_f16_e32 v57, 0x3a62, v29
	v_add_f16_e32 v56, v56, v58
	v_fma_f16 v58, v46, s13, -v57
	v_add_f16_e32 v58, v58, v60
	v_mul_f16_e32 v60, 0x3a62, v28
	v_fma_f16 v57, v46, s13, v57
	v_add_f16_e32 v54, v54, v62
	v_fma_f16 v62, v47, s13, v60
	v_add_f16_e32 v57, v57, v59
	v_fma_f16 v59, v47, s13, -v60
	v_mul_f16_e32 v60, 0xb5c8, v29
	v_add_f16_e32 v61, v61, v64
	v_add_f16_e32 v59, v59, v63
	v_fma_f16 v63, v46, s12, -v60
	v_mul_f16_e32 v64, 0xb5c8, v28
	v_fma_f16 v60, v46, s12, v60
	v_add_f16_e32 v62, v62, v66
	v_fma_f16 v66, v47, s12, v64
	v_add_f16_e32 v60, v60, v65
	v_fma_f16 v64, v47, s12, -v64
	v_mul_f16_e32 v65, 0xb1e1, v29
	v_add_f16_e32 v63, v63, v67
	v_add_f16_e32 v64, v64, v68
	v_fma_f16 v67, v46, s15, -v65
	;; [unrolled: 10-line block ×3, first 2 shown]
	v_mul_f16_e32 v72, 0x3964, v28
	v_mul_f16_e32 v28, 0xbbb2, v28
	v_add_f16_e32 v70, v70, v74
	v_add_f16_e32 v71, v71, v75
	v_fma_f16 v74, v47, s10, v72
	v_fma_f16 v69, v46, s10, v69
	v_fma_f16 v72, v47, s10, -v72
	v_mul_f16_e32 v29, 0xbbb2, v29
	v_fma_f16 v75, v47, s11, v28
	v_fma_f16 v28, v47, s11, -v28
	v_add_f16_e32 v47, v25, v27
	v_sub_f16_e32 v25, v25, v27
	v_add_f16_e32 v69, v69, v73
	v_fma_f16 v73, v46, s11, -v29
	v_fma_f16 v29, v46, s11, v29
	v_add_f16_e32 v46, v24, v26
	v_sub_f16_e32 v24, v24, v26
	v_mul_f16_e32 v26, 0xb1e1, v25
	v_fma_f16 v27, v46, s15, -v26
	v_add_f16_e32 v27, v27, v31
	v_mul_f16_e32 v31, 0xb1e1, v24
	v_add_f16_e32 v28, v28, v44
	v_fma_f16 v44, v47, s15, v31
	v_fma_f16 v26, v46, s15, v26
	v_add_f16_e32 v49, v44, v49
	v_add_f16_e32 v44, v26, v30
	v_fma_f16 v26, v47, s15, -v31
	v_add_f16_e32 v29, v29, v45
	v_add_f16_e32 v45, v26, v48
	v_mul_f16_e32 v26, 0x35c8, v25
	v_fma_f16 v30, v46, s12, -v26
	v_mul_f16_e32 v31, 0x35c8, v24
	v_fma_f16 v26, v46, s12, v26
	v_fma_f16 v48, v47, s12, v31
	v_add_f16_e32 v26, v26, v50
	v_fma_f16 v31, v47, s12, -v31
	v_mul_f16_e32 v50, 0xb836, v25
	v_add_f16_e32 v30, v30, v51
	v_add_f16_e32 v31, v31, v52
	v_fma_f16 v51, v46, s14, -v50
	v_mul_f16_e32 v52, 0xb836, v24
	v_fma_f16 v50, v46, s14, v50
	v_add_f16_e32 v48, v48, v54
	v_fma_f16 v54, v47, s14, v52
	v_add_f16_e32 v50, v50, v53
	v_fma_f16 v52, v47, s14, -v52
	v_mul_f16_e32 v53, 0x3964, v25
	v_add_f16_e32 v51, v51, v55
	v_add_f16_e32 v52, v52, v56
	v_fma_f16 v55, v46, s10, -v53
	v_mul_f16_e32 v56, 0x3964, v24
	v_fma_f16 v53, v46, s10, v53
	v_add_f16_e32 v55, v55, v58
	;; [unrolled: 10-line block ×4, first 2 shown]
	v_fma_f16 v66, v47, s3, v64
	v_add_f16_e32 v61, v61, v65
	v_fma_f16 v64, v47, s3, -v64
	v_mul_f16_e32 v65, 0xbbb2, v25
	v_add_f16_e32 v63, v63, v67
	v_add_f16_e32 v64, v64, v68
	v_fma_f16 v67, v46, s11, -v65
	v_mul_f16_e32 v68, 0xbbb2, v24
	v_mul_f16_e32 v24, 0x3bf7, v24
	v_add_f16_e32 v94, v94, v96
	v_add_f16_e32 v67, v67, v71
	v_fma_f16 v65, v46, s11, v65
	v_mul_f16_e32 v25, 0x3bf7, v25
	v_fma_f16 v71, v47, s2, v24
	v_fma_f16 v24, v47, s2, -v24
	v_add_f16_e32 v93, v93, v97
	v_add_f16_e32 v95, v95, v98
	v_add_f16_e32 v90, v90, v94
	v_add_f16_e32 v65, v65, v69
	v_fma_f16 v69, v46, s2, -v25
	v_fma_f16 v25, v46, s2, v25
	v_add_f16_e32 v24, v24, v28
	v_mov_b32_e32 v28, 0x908
	v_cmp_lt_u32_e64 s[2:3], 33, v6
	v_add_f16_e32 v89, v89, v93
	v_add_f16_e32 v91, v91, v95
	;; [unrolled: 1-line block ×3, first 2 shown]
	v_cndmask_b32_e64 v28, 0, v28, s[2:3]
	v_add_f16_e32 v88, v88, v92
	v_add_f16_e32 v85, v85, v89
	;; [unrolled: 1-line block ×4, first 2 shown]
	v_add_u32_e32 v28, 0, v28
	v_add_f16_e32 v84, v84, v88
	v_add_f16_e32 v81, v81, v85
	;; [unrolled: 1-line block ×4, first 2 shown]
	v_add3_u32 v1, v28, v1, v7
	v_pack_b32_f16 v7, v21, v23
	v_pack_b32_f16 v21, v27, v49
	v_add_f16_e32 v80, v80, v84
	v_add_f16_e32 v77, v77, v81
	;; [unrolled: 1-line block ×5, first 2 shown]
	v_fma_f16 v70, v47, s11, v68
	ds_write2_b32 v1, v7, v21 offset1:34
	v_pack_b32_f16 v7, v30, v48
	v_pack_b32_f16 v21, v51, v54
	v_add_f16_e32 v76, v76, v80
	v_add_f16_e32 v73, v73, v77
	;; [unrolled: 1-line block ×4, first 2 shown]
	ds_write2_b32 v1, v7, v21 offset0:68 offset1:102
	v_pack_b32_f16 v7, v55, v58
	v_pack_b32_f16 v21, v59, v62
	v_add_f16_e32 v72, v72, v76
	v_fma_f16 v68, v47, s11, -v68
	v_add_f16_e32 v69, v69, v73
	v_add_f16_e32 v71, v71, v75
	;; [unrolled: 1-line block ×3, first 2 shown]
	ds_write2_b32 v1, v7, v21 offset0:136 offset1:170
	v_pack_b32_f16 v7, v63, v66
	v_pack_b32_f16 v21, v67, v70
	v_add_f16_e32 v68, v68, v72
	ds_write2_b32 v1, v7, v21 offset0:204 offset1:238
	v_pack_b32_f16 v7, v69, v71
	v_pack_b32_f16 v21, v25, v24
	v_add_u32_e32 v23, 0x400, v1
	ds_write2_b32 v23, v7, v21 offset0:16 offset1:50
	v_pack_b32_f16 v7, v65, v68
	v_pack_b32_f16 v21, v61, v64
	ds_write2_b32 v23, v7, v21 offset0:84 offset1:118
	v_pack_b32_f16 v7, v57, v60
	v_pack_b32_f16 v21, v53, v56
	;; [unrolled: 3-line block ×3, first 2 shown]
	ds_write2_b32 v23, v7, v21 offset0:220 offset1:254
	v_pack_b32_f16 v7, v44, v45
	ds_write_b32 v1, v7 offset:2176
	s_waitcnt lgkmcnt(0)
	s_barrier
	ds_read2_b32 v[24:25], v19 offset0:66 offset1:134
	ds_read2_b32 v[26:27], v17 offset0:74 offset1:142
	;; [unrolled: 1-line block ×4, first 2 shown]
	ds_read_b32 v46, v9
	ds_read_b32 v47, v41
	;; [unrolled: 1-line block ×8, first 2 shown]
	s_and_saveexec_b64 s[2:3], vcc
	s_cbranch_execz .LBB0_18
; %bb.17:
	ds_read_b32 v44, v11
	ds_read_b32 v42, v38 offset:4488
	v_mov_b32_e32 v0, v8
	s_waitcnt lgkmcnt(1)
	v_lshrrev_b32_e32 v45, 16, v44
	s_waitcnt lgkmcnt(0)
	v_lshrrev_b32_e32 v43, 16, v42
.LBB0_18:
	s_or_b64 exec, exec, s[2:3]
	v_mov_b32_e32 v7, 0
	v_mov_b32_e32 v11, v7
	;; [unrolled: 1-line block ×7, first 2 shown]
	v_lshl_add_u64 v[66:67], v[10:11], 2, s[8:9]
	v_mov_b32_e32 v15, v7
	v_lshl_add_u64 v[54:55], v[6:7], 2, s[8:9]
	v_lshl_add_u64 v[56:57], v[22:23], 2, s[8:9]
	;; [unrolled: 1-line block ×7, first 2 shown]
	global_load_dword v53, v[66:67], off offset:2244
	global_load_dword v70, v[64:65], off offset:2244
	;; [unrolled: 1-line block ×8, first 2 shown]
	s_mov_b32 s2, 0xffff
	s_waitcnt lgkmcnt(0)
	s_barrier
	s_waitcnt vmcnt(7)
	v_pk_mul_f16 v54, v53, v28 op_sel:[0,1]
	s_waitcnt vmcnt(6)
	v_pk_mul_f16 v55, v70, v31 op_sel:[0,1]
	;; [unrolled: 2-line block ×8, first 2 shown]
	v_pk_fma_f16 v62, v53, v28, v54 op_sel:[0,0,1] op_sel_hi:[1,1,0] neg_lo:[0,0,1] neg_hi:[0,0,1]
	v_pk_fma_f16 v28, v53, v28, v54 op_sel:[0,0,1] op_sel_hi:[1,0,0]
	v_pk_fma_f16 v53, v70, v31, v55 op_sel:[0,0,1] op_sel_hi:[1,1,0] neg_lo:[0,0,1] neg_hi:[0,0,1]
	v_pk_fma_f16 v31, v70, v31, v55 op_sel:[0,0,1] op_sel_hi:[1,0,0]
	;; [unrolled: 2-line block ×8, first 2 shown]
	v_bfi_b32 v29, s2, v59, v29
	v_bfi_b32 v28, s2, v62, v28
	;; [unrolled: 1-line block ×8, first 2 shown]
	v_pk_add_f16 v29, v1, v29 neg_lo:[0,1] neg_hi:[0,1]
	v_pk_add_f16 v28, v52, v28 neg_lo:[0,1] neg_hi:[0,1]
	;; [unrolled: 1-line block ×8, first 2 shown]
	v_pk_fma_f16 v1, v1, 2.0, v29 op_sel_hi:[1,0,1] neg_lo:[0,0,1] neg_hi:[0,0,1]
	v_pk_fma_f16 v52, v52, 2.0, v28 op_sel_hi:[1,0,1] neg_lo:[0,0,1] neg_hi:[0,0,1]
	;; [unrolled: 1-line block ×8, first 2 shown]
	ds_write_b32 v38, v24 offset:2312
	ds_write_b32 v38, v46
	ds_write_b32 v41, v47
	ds_write_b32 v41, v25 offset:2312
	ds_write_b32 v40, v48
	ds_write_b32 v40, v26 offset:2312
	ds_write_b32 v39, v49
	ds_write_b32 v39, v27 offset:2312
	ds_write_b32 v35, v50
	ds_write_b32 v35, v30 offset:2312
	ds_write_b32 v34, v51
	ds_write_b32 v34, v31 offset:2312
	ds_write_b32 v33, v52
	ds_write_b32 v33, v28 offset:2312
	ds_write_b32 v32, v1
	ds_write_b32 v32, v29 offset:2312
	s_and_saveexec_b64 s[2:3], vcc
	s_cbranch_execz .LBB0_20
; %bb.19:
	v_mov_b32_e32 v1, v7
	v_lshl_add_u64 v[0:1], v[0:1], 2, s[8:9]
	global_load_dword v0, v[0:1], off offset:2244
	s_waitcnt vmcnt(0)
	v_mul_f16_sdwa v1, v43, v0 dst_sel:DWORD dst_unused:UNUSED_PAD src0_sel:DWORD src1_sel:WORD_1
	v_mul_f16_sdwa v24, v42, v0 dst_sel:DWORD dst_unused:UNUSED_PAD src0_sel:DWORD src1_sel:WORD_1
	v_fma_f16 v1, v42, v0, -v1
	v_fma_f16 v0, v43, v0, v24
	v_sub_f16_e32 v1, v44, v1
	v_sub_f16_e32 v0, v45, v0
	v_fma_f16 v24, v44, 2.0, -v1
	v_fma_f16 v25, v45, 2.0, -v0
	v_pack_b32_f16 v0, v1, v0
	v_pack_b32_f16 v1, v24, v25
	ds_write_b32 v38, v1 offset:2176
	ds_write_b32 v38, v0 offset:4488
.LBB0_20:
	s_or_b64 exec, exec, s[2:3]
	s_waitcnt lgkmcnt(0)
	s_barrier
	ds_read_b32 v26, v9
	s_add_u32 s8, s8, 0x11cc
	s_addc_u32 s9, s9, 0
	v_sub_u32_e32 v0, v36, v37
	v_cmp_ne_u32_e64 s[2:3], 0, v6
                                        ; implicit-def: $vgpr24
                                        ; implicit-def: $vgpr1
                                        ; implicit-def: $vgpr25
	s_and_saveexec_b64 s[10:11], s[2:3]
	s_xor_b64 s[2:3], exec, s[10:11]
	s_cbranch_execz .LBB0_22
; %bb.21:
	v_lshl_add_u64 v[24:25], v[6:7], 2, s[8:9]
	global_load_dword v7, v[24:25], off
	ds_read_b32 v1, v0 offset:4624
	s_waitcnt lgkmcnt(0)
	v_add_f16_sdwa v25, v1, v26 dst_sel:DWORD dst_unused:UNUSED_PAD src0_sel:WORD_1 src1_sel:WORD_1
	v_sub_f16_e32 v27, v26, v1
	v_add_f16_e32 v24, v1, v26
	v_sub_f16_sdwa v1, v26, v1 dst_sel:DWORD dst_unused:UNUSED_PAD src0_sel:WORD_1 src1_sel:WORD_1
	v_mul_f16_e32 v26, 0.5, v25
	v_mul_f16_e32 v27, 0.5, v27
	;; [unrolled: 1-line block ×3, first 2 shown]
	s_waitcnt vmcnt(0)
	v_lshrrev_b32_e32 v25, 16, v7
	v_mul_f16_e32 v28, v25, v27
	v_fma_f16 v29, v26, v25, v1
	v_fma_f16 v30, v26, v25, -v1
	v_fma_f16 v1, v24, 0.5, v28
	v_fma_f16 v24, v24, 0.5, -v28
	v_fma_f16 v28, v7, v26, v1
	v_fma_f16 v25, -v7, v27, v29
	v_fma_f16 v1, -v7, v26, v24
	ds_write_b16 v9, v28
	v_fma_f16 v24, -v7, v27, v30
                                        ; implicit-def: $vgpr26
.LBB0_22:
	s_andn2_saveexec_b64 s[2:3], s[2:3]
	s_cbranch_execz .LBB0_24
; %bb.23:
	ds_read_u16 v7, v36 offset:2314
	s_waitcnt lgkmcnt(1)
	v_add_f16_sdwa v24, v26, v26 dst_sel:DWORD dst_unused:UNUSED_PAD src0_sel:WORD_1 src1_sel:DWORD
	v_sub_f16_sdwa v1, v26, v26 dst_sel:DWORD dst_unused:UNUSED_PAD src0_sel:DWORD src1_sel:WORD_1
	v_mov_b32_e32 v25, 0
	ds_write_b16 v9, v24
	s_waitcnt lgkmcnt(1)
	v_xor_b32_e32 v7, 0x8000, v7
	v_mov_b32_e32 v24, 0
	ds_write_b16 v36, v7 offset:2314
.LBB0_24:
	s_or_b64 exec, exec, s[2:3]
	v_lshl_add_u64 v[22:23], v[22:23], 2, s[8:9]
	global_load_dword v7, v[22:23], off
	v_lshl_add_u64 v[20:21], v[20:21], 2, s[8:9]
	global_load_dword v20, v[20:21], off
	;; [unrolled: 2-line block ×3, first 2 shown]
	s_mov_b32 s2, 0x5040100
	v_perm_b32 v1, v24, v1, s2
	ds_write_b16 v9, v25 offset:2
	v_lshl_add_u64 v[12:13], v[12:13], 2, s[8:9]
	ds_write_b32 v0, v1 offset:4624
	v_lshl_add_u64 v[16:17], v[16:17], 2, s[8:9]
	v_lshl_add_u64 v[10:11], v[10:11], 2, s[8:9]
	;; [unrolled: 1-line block ×3, first 2 shown]
	ds_read_b32 v1, v41
	ds_read_b32 v9, v0 offset:4352
	global_load_dword v19, v[12:13], off
	global_load_dword v21, v[16:17], off
	;; [unrolled: 1-line block ×4, first 2 shown]
	s_mov_b32 s10, 0xffff
	s_waitcnt lgkmcnt(0)
	v_pk_add_f16 v10, v1, v9 neg_lo:[0,1] neg_hi:[0,1]
	v_pk_add_f16 v1, v1, v9
	s_nop 0
	v_bfi_b32 v9, s10, v10, v1
	v_bfi_b32 v1, s10, v1, v10
	v_pk_mul_f16 v9, v9, 0.5 op_sel_hi:[1,0]
	v_pk_mul_f16 v1, v1, 0.5 op_sel_hi:[1,0]
	s_waitcnt vmcnt(6)
	v_pk_mul_f16 v11, v7, v9 op_sel_hi:[0,1]
	v_pk_fma_f16 v10, v7, v9, v1 op_sel:[1,0,0]
	v_pk_fma_f16 v12, v7, v9, v1 op_sel:[1,0,0] neg_lo:[1,0,0] neg_hi:[1,0,0]
	v_pk_fma_f16 v1, v7, v9, v1 op_sel:[1,0,0] neg_lo:[0,0,1] neg_hi:[0,0,1]
	v_pk_add_f16 v7, v10, v11 op_sel:[0,1] op_sel_hi:[1,0]
	v_pk_add_f16 v9, v10, v11 op_sel:[0,1] op_sel_hi:[1,0] neg_lo:[0,1] neg_hi:[0,1]
	v_pk_add_f16 v10, v12, v11 op_sel:[0,1] op_sel_hi:[1,0] neg_lo:[0,1] neg_hi:[0,1]
	v_pk_add_f16 v1, v1, v11 op_sel:[0,1] op_sel_hi:[1,0] neg_lo:[0,1] neg_hi:[0,1]
	v_bfi_b32 v7, s10, v7, v9
	v_bfi_b32 v1, s10, v10, v1
	ds_write_b32 v41, v7
	ds_write_b32 v0, v1 offset:4352
	ds_read_b32 v1, v40
	ds_read_b32 v7, v0 offset:4080
	s_waitcnt lgkmcnt(0)
	v_pk_add_f16 v9, v1, v7 neg_lo:[0,1] neg_hi:[0,1]
	v_pk_add_f16 v1, v1, v7
	s_nop 0
	v_bfi_b32 v7, s10, v9, v1
	v_bfi_b32 v1, s10, v1, v9
	v_pk_mul_f16 v7, v7, 0.5 op_sel_hi:[1,0]
	v_pk_mul_f16 v1, v1, 0.5 op_sel_hi:[1,0]
	s_waitcnt vmcnt(5)
	v_pk_mul_f16 v10, v20, v7 op_sel_hi:[0,1]
	v_pk_fma_f16 v9, v20, v7, v1 op_sel:[1,0,0]
	v_pk_fma_f16 v11, v20, v7, v1 op_sel:[1,0,0] neg_lo:[1,0,0] neg_hi:[1,0,0]
	v_pk_fma_f16 v1, v20, v7, v1 op_sel:[1,0,0] neg_lo:[0,0,1] neg_hi:[0,0,1]
	v_pk_add_f16 v7, v9, v10 op_sel:[0,1] op_sel_hi:[1,0]
	v_pk_add_f16 v9, v9, v10 op_sel:[0,1] op_sel_hi:[1,0] neg_lo:[0,1] neg_hi:[0,1]
	v_pk_add_f16 v11, v11, v10 op_sel:[0,1] op_sel_hi:[1,0] neg_lo:[0,1] neg_hi:[0,1]
	v_pk_add_f16 v1, v1, v10 op_sel:[0,1] op_sel_hi:[1,0] neg_lo:[0,1] neg_hi:[0,1]
	v_bfi_b32 v7, s10, v7, v9
	v_bfi_b32 v1, s10, v11, v1
	ds_write_b32 v40, v7
	ds_write_b32 v0, v1 offset:4080
	ds_read_b32 v1, v39
	ds_read_b32 v7, v0 offset:3808
	;; [unrolled: 23-line block ×6, first 2 shown]
	s_waitcnt lgkmcnt(0)
	v_pk_add_f16 v9, v1, v7 neg_lo:[0,1] neg_hi:[0,1]
	v_pk_add_f16 v1, v1, v7
	s_nop 0
	v_bfi_b32 v7, s10, v9, v1
	v_bfi_b32 v1, s10, v1, v9
	v_pk_mul_f16 v7, v7, 0.5 op_sel_hi:[1,0]
	v_pk_mul_f16 v1, v1, 0.5 op_sel_hi:[1,0]
	s_waitcnt vmcnt(0)
	v_pk_mul_f16 v10, v23, v7 op_sel_hi:[0,1]
	v_pk_fma_f16 v9, v23, v7, v1 op_sel:[1,0,0]
	v_pk_fma_f16 v11, v23, v7, v1 op_sel:[1,0,0] neg_lo:[1,0,0] neg_hi:[1,0,0]
	v_pk_fma_f16 v1, v23, v7, v1 op_sel:[1,0,0] neg_lo:[0,0,1] neg_hi:[0,0,1]
	v_pk_add_f16 v7, v9, v10 op_sel:[0,1] op_sel_hi:[1,0]
	v_pk_add_f16 v9, v9, v10 op_sel:[0,1] op_sel_hi:[1,0] neg_lo:[0,1] neg_hi:[0,1]
	v_pk_add_f16 v11, v11, v10 op_sel:[0,1] op_sel_hi:[1,0] neg_lo:[0,1] neg_hi:[0,1]
	;; [unrolled: 1-line block ×3, first 2 shown]
	v_bfi_b32 v7, s10, v7, v9
	v_bfi_b32 v1, s10, v11, v1
	ds_write_b32 v32, v7
	ds_write_b32 v0, v1 offset:2720
	s_and_saveexec_b64 s[2:3], vcc
	s_cbranch_execz .LBB0_26
; %bb.25:
	v_mov_b32_e32 v9, 0
	v_lshl_add_u64 v[10:11], v[8:9], 2, s[8:9]
	global_load_dword v1, v[10:11], off
	v_lshl_add_u32 v7, v8, 2, v36
	ds_read_b32 v8, v7
	ds_read_b32 v9, v0 offset:2448
	s_waitcnt lgkmcnt(0)
	v_pk_add_f16 v10, v8, v9 neg_lo:[0,1] neg_hi:[0,1]
	v_pk_add_f16 v8, v8, v9
	s_nop 0
	v_bfi_b32 v9, s10, v10, v8
	v_bfi_b32 v8, s10, v8, v10
	v_pk_mul_f16 v9, v9, 0.5 op_sel_hi:[1,0]
	v_pk_mul_f16 v8, v8, 0.5 op_sel_hi:[1,0]
	s_waitcnt vmcnt(0)
	v_pk_mul_f16 v11, v1, v9 op_sel_hi:[0,1]
	v_pk_fma_f16 v10, v1, v9, v8 op_sel:[1,0,0]
	v_pk_fma_f16 v12, v1, v9, v8 op_sel:[1,0,0] neg_lo:[1,0,0] neg_hi:[1,0,0]
	v_pk_fma_f16 v1, v1, v9, v8 op_sel:[1,0,0] neg_lo:[0,0,1] neg_hi:[0,0,1]
	v_pk_add_f16 v8, v10, v11 op_sel:[0,1] op_sel_hi:[1,0]
	v_pk_add_f16 v9, v10, v11 op_sel:[0,1] op_sel_hi:[1,0] neg_lo:[0,1] neg_hi:[0,1]
	v_pk_add_f16 v10, v12, v11 op_sel:[0,1] op_sel_hi:[1,0] neg_lo:[0,1] neg_hi:[0,1]
	;; [unrolled: 1-line block ×3, first 2 shown]
	v_bfi_b32 v8, s10, v8, v9
	v_bfi_b32 v1, s10, v10, v1
	ds_write_b32 v7, v8
	ds_write_b32 v0, v1 offset:2448
.LBB0_26:
	s_or_b64 exec, exec, s[2:3]
	s_waitcnt lgkmcnt(0)
	s_barrier
	s_and_saveexec_b64 s[2:3], s[0:1]
	s_cbranch_execz .LBB0_29
; %bb.27:
	v_mul_lo_u32 v7, s5, v4
	v_mad_u64_u32 v[0:1], s[0:1], s4, v4, 0
	v_lshl_add_u32 v4, v6, 2, v36
	v_mul_lo_u32 v5, s4, v5
	ds_read2_b32 v[8:9], v4 offset1:68
	v_add3_u32 v1, v1, v5, v7
	v_lshl_add_u64 v[0:1], v[0:1], 2, s[6:7]
	v_mov_b32_e32 v7, 0
	v_lshl_add_u64 v[0:1], v[2:3], 2, v[0:1]
	v_lshl_add_u64 v[2:3], v[6:7], 2, v[0:1]
	ds_read2_b32 v[10:11], v4 offset0:136 offset1:204
	s_waitcnt lgkmcnt(1)
	global_store_dword v[2:3], v8, off
	v_add_u32_e32 v2, 0x44, v6
	v_mov_b32_e32 v3, v7
	v_lshl_add_u64 v[2:3], v[2:3], 2, v[0:1]
	global_store_dword v[2:3], v9, off
	v_add_u32_e32 v2, 0x88, v6
	v_mov_b32_e32 v3, v7
	v_add_u32_e32 v5, 0x400, v4
	v_lshl_add_u64 v[2:3], v[2:3], 2, v[0:1]
	ds_read2_b32 v[8:9], v5 offset0:16 offset1:84
	s_waitcnt lgkmcnt(1)
	global_store_dword v[2:3], v10, off
	v_add_u32_e32 v2, 0xcc, v6
	v_mov_b32_e32 v3, v7
	v_lshl_add_u64 v[2:3], v[2:3], 2, v[0:1]
	global_store_dword v[2:3], v11, off
	v_add_u32_e32 v2, 0x110, v6
	v_mov_b32_e32 v3, v7
	v_lshl_add_u64 v[2:3], v[2:3], 2, v[0:1]
	ds_read2_b32 v[10:11], v5 offset0:152 offset1:220
	s_waitcnt lgkmcnt(1)
	global_store_dword v[2:3], v8, off
	v_add_u32_e32 v2, 0x154, v6
	v_mov_b32_e32 v3, v7
	v_lshl_add_u64 v[2:3], v[2:3], 2, v[0:1]
	global_store_dword v[2:3], v9, off
	v_add_u32_e32 v2, 0x198, v6
	v_mov_b32_e32 v3, v7
	v_add_u32_e32 v5, 0x800, v4
	v_lshl_add_u64 v[2:3], v[2:3], 2, v[0:1]
	ds_read2_b32 v[8:9], v5 offset0:32 offset1:100
	s_waitcnt lgkmcnt(1)
	global_store_dword v[2:3], v10, off
	v_add_u32_e32 v2, 0x1dc, v6
	v_mov_b32_e32 v3, v7
	v_lshl_add_u64 v[2:3], v[2:3], 2, v[0:1]
	global_store_dword v[2:3], v11, off
	v_add_u32_e32 v2, 0x220, v6
	v_mov_b32_e32 v3, v7
	;; [unrolled: 21-line block ×3, first 2 shown]
	v_lshl_add_u64 v[2:3], v[2:3], 2, v[0:1]
	ds_read2_b32 v[10:11], v5 offset0:184 offset1:252
	s_waitcnt lgkmcnt(1)
	global_store_dword v[2:3], v8, off
	v_add_u32_e32 v2, 0x374, v6
	v_mov_b32_e32 v3, v7
	v_lshl_add_u64 v[2:3], v[2:3], 2, v[0:1]
	global_store_dword v[2:3], v9, off
	v_add_u32_e32 v2, 0x3b8, v6
	v_mov_b32_e32 v3, v7
	v_lshl_add_u64 v[2:3], v[2:3], 2, v[0:1]
	ds_read_b32 v5, v4 offset:4352
	s_waitcnt lgkmcnt(1)
	global_store_dword v[2:3], v10, off
	v_add_u32_e32 v2, 0x3fc, v6
	v_mov_b32_e32 v3, v7
	v_lshl_add_u64 v[2:3], v[2:3], 2, v[0:1]
	global_store_dword v[2:3], v11, off
	v_add_u32_e32 v2, 0x440, v6
	v_mov_b32_e32 v3, v7
	s_movk_i32 s0, 0x43
	v_lshl_add_u64 v[2:3], v[2:3], 2, v[0:1]
	v_cmp_eq_u32_e32 vcc, s0, v6
	s_waitcnt lgkmcnt(0)
	global_store_dword v[2:3], v5, off
	s_and_b64 exec, exec, vcc
	s_cbranch_execz .LBB0_29
; %bb.28:
	ds_read_b32 v2, v4 offset:4356
	v_add_co_u32_e32 v0, vcc, 0x1000, v0
	s_nop 1
	v_addc_co_u32_e32 v1, vcc, 0, v1, vcc
	s_waitcnt lgkmcnt(0)
	global_store_dword v[0:1], v2, off offset:528
.LBB0_29:
	s_endpgm
	.section	.rodata,"a",@progbits
	.p2align	6, 0x0
	.amdhsa_kernel fft_rtc_fwd_len1156_factors_17_2_17_2_wgs_204_tpt_68_halfLds_half_op_CI_CI_unitstride_sbrr_R2C_dirReg
		.amdhsa_group_segment_fixed_size 0
		.amdhsa_private_segment_fixed_size 0
		.amdhsa_kernarg_size 104
		.amdhsa_user_sgpr_count 2
		.amdhsa_user_sgpr_dispatch_ptr 0
		.amdhsa_user_sgpr_queue_ptr 0
		.amdhsa_user_sgpr_kernarg_segment_ptr 1
		.amdhsa_user_sgpr_dispatch_id 0
		.amdhsa_user_sgpr_kernarg_preload_length 0
		.amdhsa_user_sgpr_kernarg_preload_offset 0
		.amdhsa_user_sgpr_private_segment_size 0
		.amdhsa_uses_dynamic_stack 0
		.amdhsa_enable_private_segment 0
		.amdhsa_system_sgpr_workgroup_id_x 1
		.amdhsa_system_sgpr_workgroup_id_y 0
		.amdhsa_system_sgpr_workgroup_id_z 0
		.amdhsa_system_sgpr_workgroup_info 0
		.amdhsa_system_vgpr_workitem_id 0
		.amdhsa_next_free_vgpr 99
		.amdhsa_next_free_sgpr 28
		.amdhsa_accum_offset 100
		.amdhsa_reserve_vcc 1
		.amdhsa_float_round_mode_32 0
		.amdhsa_float_round_mode_16_64 0
		.amdhsa_float_denorm_mode_32 3
		.amdhsa_float_denorm_mode_16_64 3
		.amdhsa_dx10_clamp 1
		.amdhsa_ieee_mode 1
		.amdhsa_fp16_overflow 0
		.amdhsa_tg_split 0
		.amdhsa_exception_fp_ieee_invalid_op 0
		.amdhsa_exception_fp_denorm_src 0
		.amdhsa_exception_fp_ieee_div_zero 0
		.amdhsa_exception_fp_ieee_overflow 0
		.amdhsa_exception_fp_ieee_underflow 0
		.amdhsa_exception_fp_ieee_inexact 0
		.amdhsa_exception_int_div_zero 0
	.end_amdhsa_kernel
	.text
.Lfunc_end0:
	.size	fft_rtc_fwd_len1156_factors_17_2_17_2_wgs_204_tpt_68_halfLds_half_op_CI_CI_unitstride_sbrr_R2C_dirReg, .Lfunc_end0-fft_rtc_fwd_len1156_factors_17_2_17_2_wgs_204_tpt_68_halfLds_half_op_CI_CI_unitstride_sbrr_R2C_dirReg
                                        ; -- End function
	.section	.AMDGPU.csdata,"",@progbits
; Kernel info:
; codeLenInByte = 17372
; NumSgprs: 34
; NumVgprs: 99
; NumAgprs: 0
; TotalNumVgprs: 99
; ScratchSize: 0
; MemoryBound: 0
; FloatMode: 240
; IeeeMode: 1
; LDSByteSize: 0 bytes/workgroup (compile time only)
; SGPRBlocks: 4
; VGPRBlocks: 12
; NumSGPRsForWavesPerEU: 34
; NumVGPRsForWavesPerEU: 99
; AccumOffset: 100
; Occupancy: 4
; WaveLimiterHint : 1
; COMPUTE_PGM_RSRC2:SCRATCH_EN: 0
; COMPUTE_PGM_RSRC2:USER_SGPR: 2
; COMPUTE_PGM_RSRC2:TRAP_HANDLER: 0
; COMPUTE_PGM_RSRC2:TGID_X_EN: 1
; COMPUTE_PGM_RSRC2:TGID_Y_EN: 0
; COMPUTE_PGM_RSRC2:TGID_Z_EN: 0
; COMPUTE_PGM_RSRC2:TIDIG_COMP_CNT: 0
; COMPUTE_PGM_RSRC3_GFX90A:ACCUM_OFFSET: 24
; COMPUTE_PGM_RSRC3_GFX90A:TG_SPLIT: 0
	.text
	.p2alignl 6, 3212836864
	.fill 256, 4, 3212836864
	.type	__hip_cuid_46a83f3af7b8faf6,@object ; @__hip_cuid_46a83f3af7b8faf6
	.section	.bss,"aw",@nobits
	.globl	__hip_cuid_46a83f3af7b8faf6
__hip_cuid_46a83f3af7b8faf6:
	.byte	0                               ; 0x0
	.size	__hip_cuid_46a83f3af7b8faf6, 1

	.ident	"AMD clang version 19.0.0git (https://github.com/RadeonOpenCompute/llvm-project roc-6.4.0 25133 c7fe45cf4b819c5991fe208aaa96edf142730f1d)"
	.section	".note.GNU-stack","",@progbits
	.addrsig
	.addrsig_sym __hip_cuid_46a83f3af7b8faf6
	.amdgpu_metadata
---
amdhsa.kernels:
  - .agpr_count:     0
    .args:
      - .actual_access:  read_only
        .address_space:  global
        .offset:         0
        .size:           8
        .value_kind:     global_buffer
      - .offset:         8
        .size:           8
        .value_kind:     by_value
      - .actual_access:  read_only
        .address_space:  global
        .offset:         16
        .size:           8
        .value_kind:     global_buffer
      - .actual_access:  read_only
        .address_space:  global
        .offset:         24
        .size:           8
        .value_kind:     global_buffer
      - .actual_access:  read_only
        .address_space:  global
        .offset:         32
        .size:           8
        .value_kind:     global_buffer
      - .offset:         40
        .size:           8
        .value_kind:     by_value
      - .actual_access:  read_only
        .address_space:  global
        .offset:         48
        .size:           8
        .value_kind:     global_buffer
      - .actual_access:  read_only
        .address_space:  global
        .offset:         56
        .size:           8
        .value_kind:     global_buffer
      - .offset:         64
        .size:           4
        .value_kind:     by_value
      - .actual_access:  read_only
        .address_space:  global
        .offset:         72
        .size:           8
        .value_kind:     global_buffer
      - .actual_access:  read_only
        .address_space:  global
        .offset:         80
        .size:           8
        .value_kind:     global_buffer
      - .actual_access:  read_only
        .address_space:  global
        .offset:         88
        .size:           8
        .value_kind:     global_buffer
      - .actual_access:  write_only
        .address_space:  global
        .offset:         96
        .size:           8
        .value_kind:     global_buffer
    .group_segment_fixed_size: 0
    .kernarg_segment_align: 8
    .kernarg_segment_size: 104
    .language:       OpenCL C
    .language_version:
      - 2
      - 0
    .max_flat_workgroup_size: 204
    .name:           fft_rtc_fwd_len1156_factors_17_2_17_2_wgs_204_tpt_68_halfLds_half_op_CI_CI_unitstride_sbrr_R2C_dirReg
    .private_segment_fixed_size: 0
    .sgpr_count:     34
    .sgpr_spill_count: 0
    .symbol:         fft_rtc_fwd_len1156_factors_17_2_17_2_wgs_204_tpt_68_halfLds_half_op_CI_CI_unitstride_sbrr_R2C_dirReg.kd
    .uniform_work_group_size: 1
    .uses_dynamic_stack: false
    .vgpr_count:     99
    .vgpr_spill_count: 0
    .wavefront_size: 64
amdhsa.target:   amdgcn-amd-amdhsa--gfx950
amdhsa.version:
  - 1
  - 2
...

	.end_amdgpu_metadata
